;; amdgpu-corpus repo=ROCm/rocFFT kind=compiled arch=gfx1030 opt=O3
	.text
	.amdgcn_target "amdgcn-amd-amdhsa--gfx1030"
	.amdhsa_code_object_version 6
	.protected	fft_rtc_back_len2197_factors_13_13_13_wgs_169_tpt_169_halfLds_sp_op_CI_CI_unitstride_sbrr_dirReg ; -- Begin function fft_rtc_back_len2197_factors_13_13_13_wgs_169_tpt_169_halfLds_sp_op_CI_CI_unitstride_sbrr_dirReg
	.globl	fft_rtc_back_len2197_factors_13_13_13_wgs_169_tpt_169_halfLds_sp_op_CI_CI_unitstride_sbrr_dirReg
	.p2align	8
	.type	fft_rtc_back_len2197_factors_13_13_13_wgs_169_tpt_169_halfLds_sp_op_CI_CI_unitstride_sbrr_dirReg,@function
fft_rtc_back_len2197_factors_13_13_13_wgs_169_tpt_169_halfLds_sp_op_CI_CI_unitstride_sbrr_dirReg: ; @fft_rtc_back_len2197_factors_13_13_13_wgs_169_tpt_169_halfLds_sp_op_CI_CI_unitstride_sbrr_dirReg
; %bb.0:
	s_clause 0x2
	s_load_dwordx4 s[12:15], s[4:5], 0x0
	s_load_dwordx4 s[8:11], s[4:5], 0x58
	;; [unrolled: 1-line block ×3, first 2 shown]
	v_mul_u32_u24_e32 v1, 0x184, v0
	v_mov_b32_e32 v3, 0
	v_mov_b32_e32 v8, 0
	;; [unrolled: 1-line block ×3, first 2 shown]
	v_add_nc_u32_sdwa v10, s6, v1 dst_sel:DWORD dst_unused:UNUSED_PAD src0_sel:DWORD src1_sel:WORD_1
	v_mov_b32_e32 v11, v3
	s_waitcnt lgkmcnt(0)
	v_cmp_lt_u64_e64 s0, s[14:15], 2
	s_and_b32 vcc_lo, exec_lo, s0
	s_cbranch_vccnz .LBB0_8
; %bb.1:
	s_load_dwordx2 s[0:1], s[4:5], 0x10
	v_mov_b32_e32 v8, 0
	v_mov_b32_e32 v9, 0
	s_add_u32 s2, s18, 8
	s_addc_u32 s3, s19, 0
	v_mov_b32_e32 v1, v8
	s_add_u32 s6, s16, 8
	v_mov_b32_e32 v2, v9
	s_addc_u32 s7, s17, 0
	s_mov_b64 s[22:23], 1
	s_waitcnt lgkmcnt(0)
	s_add_u32 s20, s0, 8
	s_addc_u32 s21, s1, 0
.LBB0_2:                                ; =>This Inner Loop Header: Depth=1
	s_load_dwordx2 s[24:25], s[20:21], 0x0
                                        ; implicit-def: $vgpr5_vgpr6
	s_mov_b32 s0, exec_lo
	s_waitcnt lgkmcnt(0)
	v_or_b32_e32 v4, s25, v11
	v_cmpx_ne_u64_e32 0, v[3:4]
	s_xor_b32 s1, exec_lo, s0
	s_cbranch_execz .LBB0_4
; %bb.3:                                ;   in Loop: Header=BB0_2 Depth=1
	v_cvt_f32_u32_e32 v4, s24
	v_cvt_f32_u32_e32 v5, s25
	s_sub_u32 s0, 0, s24
	s_subb_u32 s26, 0, s25
	v_fmac_f32_e32 v4, 0x4f800000, v5
	v_rcp_f32_e32 v4, v4
	v_mul_f32_e32 v4, 0x5f7ffffc, v4
	v_mul_f32_e32 v5, 0x2f800000, v4
	v_trunc_f32_e32 v5, v5
	v_fmac_f32_e32 v4, 0xcf800000, v5
	v_cvt_u32_f32_e32 v5, v5
	v_cvt_u32_f32_e32 v4, v4
	v_mul_lo_u32 v6, s0, v5
	v_mul_hi_u32 v7, s0, v4
	v_mul_lo_u32 v12, s26, v4
	v_add_nc_u32_e32 v6, v7, v6
	v_mul_lo_u32 v7, s0, v4
	v_add_nc_u32_e32 v6, v6, v12
	v_mul_hi_u32 v12, v4, v7
	v_mul_lo_u32 v13, v4, v6
	v_mul_hi_u32 v14, v4, v6
	v_mul_hi_u32 v15, v5, v7
	v_mul_lo_u32 v7, v5, v7
	v_mul_hi_u32 v16, v5, v6
	v_mul_lo_u32 v6, v5, v6
	v_add_co_u32 v12, vcc_lo, v12, v13
	v_add_co_ci_u32_e32 v13, vcc_lo, 0, v14, vcc_lo
	v_add_co_u32 v7, vcc_lo, v12, v7
	v_add_co_ci_u32_e32 v7, vcc_lo, v13, v15, vcc_lo
	v_add_co_ci_u32_e32 v12, vcc_lo, 0, v16, vcc_lo
	v_add_co_u32 v6, vcc_lo, v7, v6
	v_add_co_ci_u32_e32 v7, vcc_lo, 0, v12, vcc_lo
	v_add_co_u32 v4, vcc_lo, v4, v6
	v_add_co_ci_u32_e32 v5, vcc_lo, v5, v7, vcc_lo
	v_mul_hi_u32 v6, s0, v4
	v_mul_lo_u32 v12, s26, v4
	v_mul_lo_u32 v7, s0, v5
	v_add_nc_u32_e32 v6, v6, v7
	v_mul_lo_u32 v7, s0, v4
	v_add_nc_u32_e32 v6, v6, v12
	v_mul_hi_u32 v12, v4, v7
	v_mul_lo_u32 v13, v4, v6
	v_mul_hi_u32 v14, v4, v6
	v_mul_hi_u32 v15, v5, v7
	v_mul_lo_u32 v7, v5, v7
	v_mul_hi_u32 v16, v5, v6
	v_mul_lo_u32 v6, v5, v6
	v_add_co_u32 v12, vcc_lo, v12, v13
	v_add_co_ci_u32_e32 v13, vcc_lo, 0, v14, vcc_lo
	v_add_co_u32 v7, vcc_lo, v12, v7
	v_add_co_ci_u32_e32 v7, vcc_lo, v13, v15, vcc_lo
	v_add_co_ci_u32_e32 v12, vcc_lo, 0, v16, vcc_lo
	v_add_co_u32 v6, vcc_lo, v7, v6
	v_add_co_ci_u32_e32 v7, vcc_lo, 0, v12, vcc_lo
	v_add_co_u32 v6, vcc_lo, v4, v6
	v_add_co_ci_u32_e32 v12, vcc_lo, v5, v7, vcc_lo
	v_mul_hi_u32 v14, v10, v6
	v_mad_u64_u32 v[6:7], null, v11, v6, 0
	v_mad_u64_u32 v[4:5], null, v10, v12, 0
	;; [unrolled: 1-line block ×3, first 2 shown]
	v_add_co_u32 v4, vcc_lo, v14, v4
	v_add_co_ci_u32_e32 v5, vcc_lo, 0, v5, vcc_lo
	v_add_co_u32 v4, vcc_lo, v4, v6
	v_add_co_ci_u32_e32 v4, vcc_lo, v5, v7, vcc_lo
	v_add_co_ci_u32_e32 v5, vcc_lo, 0, v13, vcc_lo
	v_add_co_u32 v7, vcc_lo, v4, v12
	v_add_co_ci_u32_e32 v6, vcc_lo, 0, v5, vcc_lo
	v_mul_lo_u32 v12, s25, v7
	v_mad_u64_u32 v[4:5], null, s24, v7, 0
	v_mul_lo_u32 v13, s24, v6
	v_sub_co_u32 v4, vcc_lo, v10, v4
	v_add3_u32 v5, v5, v13, v12
	v_sub_nc_u32_e32 v12, v11, v5
	v_subrev_co_ci_u32_e64 v12, s0, s25, v12, vcc_lo
	v_add_co_u32 v13, s0, v7, 2
	v_add_co_ci_u32_e64 v14, s0, 0, v6, s0
	v_sub_co_u32 v15, s0, v4, s24
	v_sub_co_ci_u32_e32 v5, vcc_lo, v11, v5, vcc_lo
	v_subrev_co_ci_u32_e64 v12, s0, 0, v12, s0
	v_cmp_le_u32_e32 vcc_lo, s24, v15
	v_cmp_eq_u32_e64 s0, s25, v5
	v_cndmask_b32_e64 v15, 0, -1, vcc_lo
	v_cmp_le_u32_e32 vcc_lo, s25, v12
	v_cndmask_b32_e64 v16, 0, -1, vcc_lo
	v_cmp_le_u32_e32 vcc_lo, s24, v4
	;; [unrolled: 2-line block ×3, first 2 shown]
	v_cndmask_b32_e64 v17, 0, -1, vcc_lo
	v_cmp_eq_u32_e32 vcc_lo, s25, v12
	v_cndmask_b32_e64 v4, v17, v4, s0
	v_cndmask_b32_e32 v12, v16, v15, vcc_lo
	v_add_co_u32 v15, vcc_lo, v7, 1
	v_add_co_ci_u32_e32 v16, vcc_lo, 0, v6, vcc_lo
	v_cmp_ne_u32_e32 vcc_lo, 0, v12
	v_cndmask_b32_e32 v5, v16, v14, vcc_lo
	v_cndmask_b32_e32 v12, v15, v13, vcc_lo
	v_cmp_ne_u32_e32 vcc_lo, 0, v4
	v_cndmask_b32_e32 v6, v6, v5, vcc_lo
	v_cndmask_b32_e32 v5, v7, v12, vcc_lo
.LBB0_4:                                ;   in Loop: Header=BB0_2 Depth=1
	s_andn2_saveexec_b32 s0, s1
	s_cbranch_execz .LBB0_6
; %bb.5:                                ;   in Loop: Header=BB0_2 Depth=1
	v_cvt_f32_u32_e32 v4, s24
	s_sub_i32 s1, 0, s24
	v_rcp_iflag_f32_e32 v4, v4
	v_mul_f32_e32 v4, 0x4f7ffffe, v4
	v_cvt_u32_f32_e32 v4, v4
	v_mul_lo_u32 v5, s1, v4
	v_mul_hi_u32 v5, v4, v5
	v_add_nc_u32_e32 v4, v4, v5
	v_mul_hi_u32 v4, v10, v4
	v_mul_lo_u32 v5, v4, s24
	v_add_nc_u32_e32 v6, 1, v4
	v_sub_nc_u32_e32 v5, v10, v5
	v_subrev_nc_u32_e32 v7, s24, v5
	v_cmp_le_u32_e32 vcc_lo, s24, v5
	v_cndmask_b32_e32 v5, v5, v7, vcc_lo
	v_cndmask_b32_e32 v4, v4, v6, vcc_lo
	v_cmp_le_u32_e32 vcc_lo, s24, v5
	v_add_nc_u32_e32 v6, 1, v4
	v_cndmask_b32_e32 v5, v4, v6, vcc_lo
	v_mov_b32_e32 v6, v3
.LBB0_6:                                ;   in Loop: Header=BB0_2 Depth=1
	s_or_b32 exec_lo, exec_lo, s0
	v_mul_lo_u32 v4, v6, s24
	v_mul_lo_u32 v7, v5, s25
	s_load_dwordx2 s[0:1], s[6:7], 0x0
	v_mad_u64_u32 v[12:13], null, v5, s24, 0
	s_load_dwordx2 s[24:25], s[2:3], 0x0
	s_add_u32 s22, s22, 1
	s_addc_u32 s23, s23, 0
	s_add_u32 s2, s2, 8
	s_addc_u32 s3, s3, 0
	s_add_u32 s6, s6, 8
	v_add3_u32 v4, v13, v7, v4
	v_sub_co_u32 v7, vcc_lo, v10, v12
	s_addc_u32 s7, s7, 0
	s_add_u32 s20, s20, 8
	v_sub_co_ci_u32_e32 v4, vcc_lo, v11, v4, vcc_lo
	s_addc_u32 s21, s21, 0
	s_waitcnt lgkmcnt(0)
	v_mul_lo_u32 v10, s0, v4
	v_mul_lo_u32 v11, s1, v7
	v_mad_u64_u32 v[8:9], null, s0, v7, v[8:9]
	v_mul_lo_u32 v4, s24, v4
	v_mul_lo_u32 v12, s25, v7
	v_mad_u64_u32 v[1:2], null, s24, v7, v[1:2]
	v_cmp_ge_u64_e64 s0, s[22:23], s[14:15]
	v_add3_u32 v9, v11, v9, v10
	v_add3_u32 v2, v12, v2, v4
	s_and_b32 vcc_lo, exec_lo, s0
	s_cbranch_vccnz .LBB0_9
; %bb.7:                                ;   in Loop: Header=BB0_2 Depth=1
	v_mov_b32_e32 v11, v6
	v_mov_b32_e32 v10, v5
	s_branch .LBB0_2
.LBB0_8:
	v_mov_b32_e32 v1, v8
	v_mov_b32_e32 v5, v10
	;; [unrolled: 1-line block ×4, first 2 shown]
.LBB0_9:
	s_load_dwordx2 s[0:1], s[4:5], 0x28
	v_mul_hi_u32 v11, 0x183c978, v0
	s_lshl_b64 s[4:5], s[14:15], 3
                                        ; implicit-def: $sgpr6_sgpr7
                                        ; implicit-def: $vgpr7
	s_add_u32 s2, s18, s4
	s_addc_u32 s3, s19, s5
	s_waitcnt lgkmcnt(0)
	v_cmp_gt_u64_e32 vcc_lo, s[0:1], v[5:6]
	v_cmp_le_u64_e64 s0, s[0:1], v[5:6]
	s_and_saveexec_b32 s1, s0
	s_xor_b32 s0, exec_lo, s1
; %bb.10:
	v_mul_u32_u24_e32 v3, 0xa9, v11
	s_mov_b64 s[6:7], 0
                                        ; implicit-def: $vgpr11
                                        ; implicit-def: $vgpr8_vgpr9
	v_sub_nc_u32_e32 v7, v0, v3
                                        ; implicit-def: $vgpr0
; %bb.11:
	s_or_saveexec_b32 s1, s0
	v_mov_b32_e32 v3, s6
	v_mov_b32_e32 v26, s7
	;; [unrolled: 1-line block ×4, first 2 shown]
                                        ; implicit-def: $vgpr34
                                        ; implicit-def: $vgpr28
                                        ; implicit-def: $vgpr22
                                        ; implicit-def: $vgpr18
                                        ; implicit-def: $vgpr14
                                        ; implicit-def: $vgpr10
                                        ; implicit-def: $vgpr32
                                        ; implicit-def: $vgpr30
                                        ; implicit-def: $vgpr24
                                        ; implicit-def: $vgpr20
                                        ; implicit-def: $vgpr16
                                        ; implicit-def: $vgpr12
	s_xor_b32 exec_lo, exec_lo, s1
	s_cbranch_execz .LBB0_13
; %bb.12:
	s_add_u32 s4, s16, s4
	s_addc_u32 s5, s17, s5
	v_lshlrev_b64 v[8:9], 3, v[8:9]
	s_load_dwordx2 s[4:5], s[4:5], 0x0
	s_waitcnt lgkmcnt(0)
	v_mul_lo_u32 v7, s5, v5
	v_mul_lo_u32 v10, s4, v6
	v_mad_u64_u32 v[3:4], null, s4, v5, 0
	v_add3_u32 v4, v4, v10, v7
	v_mul_u32_u24_e32 v7, 0xa9, v11
	v_lshlrev_b64 v[3:4], 3, v[3:4]
	v_sub_nc_u32_e32 v7, v0, v7
	v_add_co_u32 v0, s0, s8, v3
	v_add_co_ci_u32_e64 v3, s0, s9, v4, s0
	v_lshlrev_b32_e32 v4, 3, v7
	v_add_co_u32 v0, s0, v0, v8
	v_add_co_ci_u32_e64 v8, s0, v3, v9, s0
	v_add_co_u32 v3, s0, v0, v4
	v_add_co_ci_u32_e64 v4, s0, 0, v8, s0
	;; [unrolled: 2-line block ×9, first 2 shown]
	s_clause 0xc
	global_load_dwordx2 v[25:26], v[3:4], off
	global_load_dwordx2 v[33:34], v[3:4], off offset:1352
	global_load_dwordx2 v[27:28], v[8:9], off offset:656
	;; [unrolled: 1-line block ×12, first 2 shown]
	v_mov_b32_e32 v8, 0
	v_mov_b32_e32 v3, v7
	;; [unrolled: 1-line block ×3, first 2 shown]
.LBB0_13:
	s_or_b32 exec_lo, exec_lo, s1
	s_waitcnt vmcnt(11)
	v_add_f32_e32 v0, v33, v25
	v_add_f32_e32 v8, v34, v26
	s_waitcnt vmcnt(0)
	v_add_f32_e32 v35, v33, v31
	v_sub_f32_e32 v33, v33, v31
	v_sub_f32_e32 v36, v34, v32
	v_add_f32_e32 v0, v27, v0
	v_add_f32_e32 v8, v28, v8
	;; [unrolled: 1-line block ×3, first 2 shown]
	v_mul_f32_e32 v42, 0xbf7e222b, v33
	v_mul_f32_e32 v37, 0xbeedf032, v36
	v_add_f32_e32 v0, v21, v0
	v_add_f32_e32 v8, v22, v8
	v_mul_f32_e32 v38, 0xbeedf032, v33
	v_fma_f32 v49, 0x3df6dbef, v34, -v42
	v_mul_f32_e32 v40, 0xbf52af12, v33
	v_add_f32_e32 v0, v17, v0
	v_add_f32_e32 v8, v18, v8
	v_mul_f32_e32 v52, 0xbf29c268, v33
	v_sub_f32_e32 v56, v28, v30
	v_mul_f32_e32 v39, 0xbf52af12, v36
	v_add_f32_e32 v0, v13, v0
	v_add_f32_e32 v8, v14, v8
	v_mul_f32_e32 v41, 0xbf7e222b, v36
	v_mul_f32_e32 v43, 0xbf6f5d39, v36
	v_fmamk_f32 v44, v35, 0x3f62ad3f, v37
	v_add_f32_e32 v0, v9, v0
	v_add_f32_e32 v8, v10, v8
	v_fma_f32 v45, 0x3f62ad3f, v34, -v38
	v_fmac_f32_e32 v38, 0x3f62ad3f, v34
	v_fma_f32 v47, 0x3f116cb1, v34, -v40
	v_add_f32_e32 v0, v11, v0
	v_add_f32_e32 v8, v12, v8
	v_fmac_f32_e32 v40, 0x3f116cb1, v34
	v_fmac_f32_e32 v42, 0x3df6dbef, v34
	v_fma_f32 v54, 0xbf3f9e67, v34, -v52
	v_add_f32_e32 v0, v15, v0
	v_add_f32_e32 v8, v16, v8
	v_fmac_f32_e32 v52, 0xbf3f9e67, v34
	v_add_f32_e32 v58, v27, v29
	v_mul_f32_e32 v59, 0xbf52af12, v56
	v_add_f32_e32 v0, v19, v0
	v_add_f32_e32 v8, v20, v8
	v_sub_f32_e32 v27, v27, v29
	v_fma_f32 v37, 0x3f62ad3f, v35, -v37
	v_fmamk_f32 v46, v35, 0x3f116cb1, v39
	v_add_f32_e32 v0, v23, v0
	v_add_f32_e32 v8, v24, v8
	v_fma_f32 v39, 0x3f116cb1, v35, -v39
	v_fmamk_f32 v48, v35, 0x3df6dbef, v41
	v_fma_f32 v41, 0x3df6dbef, v35, -v41
	v_add_f32_e32 v0, v29, v0
	v_add_f32_e32 v50, v30, v8
	;; [unrolled: 1-line block ×8, first 2 shown]
	v_mul_f32_e32 v49, 0xbf6f5d39, v33
	v_mul_f32_e32 v33, 0xbe750f2a, v33
	;; [unrolled: 1-line block ×4, first 2 shown]
	v_add_f32_e32 v47, v47, v26
	v_fma_f32 v51, 0xbeb58ec6, v34, -v49
	v_fmac_f32_e32 v49, 0xbeb58ec6, v34
	v_fma_f32 v57, 0xbf788fa5, v34, -v33
	v_fmac_f32_e32 v33, 0xbf788fa5, v34
	v_add_f32_e32 v40, v40, v26
	v_fmamk_f32 v0, v35, 0xbeb58ec6, v43
	v_add_f32_e32 v42, v42, v26
	v_fma_f32 v43, 0xbeb58ec6, v35, -v43
	v_fmamk_f32 v53, v35, 0xbf3f9e67, v50
	v_add_f32_e32 v51, v51, v26
	v_add_f32_e32 v49, v49, v26
	v_fma_f32 v50, 0xbf3f9e67, v35, -v50
	v_add_f32_e32 v54, v54, v26
	v_fmamk_f32 v55, v35, 0xbf788fa5, v36
	v_add_f32_e32 v52, v52, v26
	v_add_f32_e32 v57, v57, v26
	v_fma_f32 v29, 0xbf788fa5, v35, -v36
	v_fmamk_f32 v34, v58, 0x3f116cb1, v59
	v_add_f32_e32 v28, v28, v30
	v_mul_f32_e32 v30, 0xbf52af12, v27
	v_add_f32_e32 v26, v33, v26
	v_mul_f32_e32 v33, 0xbf6f5d39, v56
	v_add_f32_e32 v37, v37, v25
	v_add_f32_e32 v46, v46, v25
	;; [unrolled: 1-line block ×12, first 2 shown]
	v_fma_f32 v34, 0x3f116cb1, v28, -v30
	v_fmac_f32_e32 v30, 0x3f116cb1, v28
	v_fmamk_f32 v44, v58, 0xbeb58ec6, v33
	v_fma_f32 v35, 0x3f116cb1, v58, -v59
	v_mul_f32_e32 v36, 0xbf6f5d39, v27
	v_fma_f32 v33, 0xbeb58ec6, v58, -v33
	v_add_f32_e32 v30, v30, v38
	v_add_f32_e32 v38, v44, v46
	v_mul_f32_e32 v44, 0xbe750f2a, v56
	v_add_f32_e32 v34, v34, v45
	v_add_f32_e32 v35, v35, v37
	v_fma_f32 v37, 0xbeb58ec6, v28, -v36
	v_fmac_f32_e32 v36, 0xbeb58ec6, v28
	v_mul_f32_e32 v45, 0xbe750f2a, v27
	v_fmamk_f32 v46, v58, 0xbf788fa5, v44
	v_add_f32_e32 v33, v33, v39
	v_mul_f32_e32 v39, 0x3f29c268, v56
	v_fma_f32 v44, 0xbf788fa5, v58, -v44
	v_add_f32_e32 v37, v37, v47
	v_add_f32_e32 v36, v36, v40
	v_fma_f32 v40, 0xbf788fa5, v28, -v45
	v_fmamk_f32 v47, v58, 0xbf3f9e67, v39
	v_add_f32_e32 v41, v44, v41
	v_mul_f32_e32 v44, 0x3f7e222b, v56
	v_add_f32_e32 v46, v46, v48
	v_fmac_f32_e32 v45, 0xbf788fa5, v28
	v_add_f32_e32 v32, v40, v32
	v_mul_f32_e32 v40, 0x3f29c268, v27
	v_add_f32_e32 v0, v47, v0
	v_fma_f32 v39, 0xbf3f9e67, v58, -v39
	v_mul_f32_e32 v47, 0x3f7e222b, v27
	v_fmamk_f32 v48, v58, 0x3df6dbef, v44
	v_fma_f32 v44, 0x3df6dbef, v58, -v44
	v_add_f32_e32 v42, v45, v42
	v_fma_f32 v45, 0xbf3f9e67, v28, -v40
	v_fmac_f32_e32 v40, 0xbf3f9e67, v28
	v_add_f32_e32 v39, v39, v43
	v_fma_f32 v43, 0x3df6dbef, v28, -v47
	v_fmac_f32_e32 v47, 0x3df6dbef, v28
	v_add_f32_e32 v44, v44, v50
	v_sub_f32_e32 v50, v22, v24
	v_add_f32_e32 v40, v40, v49
	v_mul_f32_e32 v49, 0x3eedf032, v56
	v_add_f32_e32 v43, v43, v54
	v_mul_f32_e32 v27, 0x3eedf032, v27
	v_add_f32_e32 v47, v47, v52
	v_add_f32_e32 v52, v21, v23
	v_mul_f32_e32 v54, 0xbf7e222b, v50
	v_sub_f32_e32 v21, v21, v23
	v_add_f32_e32 v48, v48, v53
	v_fma_f32 v53, 0x3f62ad3f, v28, -v27
	v_fma_f32 v23, 0x3f62ad3f, v58, -v49
	v_fmac_f32_e32 v27, 0x3f62ad3f, v28
	v_fmamk_f32 v28, v52, 0x3df6dbef, v54
	v_add_f32_e32 v22, v22, v24
	v_mul_f32_e32 v24, 0xbf7e222b, v21
	v_add_f32_e32 v45, v45, v51
	v_fmamk_f32 v51, v58, 0x3f62ad3f, v49
	v_add_f32_e32 v23, v23, v25
	v_add_f32_e32 v25, v27, v26
	;; [unrolled: 1-line block ×3, first 2 shown]
	v_mul_f32_e32 v27, 0xbe750f2a, v50
	v_fma_f32 v28, 0x3df6dbef, v22, -v24
	v_fma_f32 v29, 0x3df6dbef, v52, -v54
	v_fmac_f32_e32 v24, 0x3df6dbef, v22
	v_mul_f32_e32 v49, 0xbe750f2a, v21
	v_fmamk_f32 v54, v52, 0xbf788fa5, v27
	v_fma_f32 v27, 0xbf788fa5, v52, -v27
	v_add_f32_e32 v29, v29, v35
	v_add_f32_e32 v24, v24, v30
	v_fma_f32 v30, 0xbf788fa5, v22, -v49
	v_mul_f32_e32 v35, 0x3f6f5d39, v50
	v_fmac_f32_e32 v49, 0xbf788fa5, v22
	v_add_f32_e32 v28, v28, v34
	v_add_f32_e32 v34, v54, v38
	;; [unrolled: 1-line block ×3, first 2 shown]
	v_mul_f32_e32 v37, 0x3f6f5d39, v21
	v_fmamk_f32 v38, v52, 0xbeb58ec6, v35
	v_add_f32_e32 v27, v27, v33
	v_add_f32_e32 v33, v49, v36
	v_mul_f32_e32 v36, 0x3eedf032, v50
	v_fma_f32 v35, 0xbeb58ec6, v52, -v35
	v_fma_f32 v49, 0xbeb58ec6, v22, -v37
	v_add_f32_e32 v38, v38, v46
	v_fmac_f32_e32 v37, 0xbeb58ec6, v22
	v_fmamk_f32 v46, v52, 0x3f62ad3f, v36
	v_add_f32_e32 v35, v35, v41
	v_mul_f32_e32 v41, 0xbf52af12, v50
	v_add_f32_e32 v32, v49, v32
	v_mul_f32_e32 v49, 0x3eedf032, v21
	v_add_f32_e32 v0, v46, v0
	v_fma_f32 v36, 0x3f62ad3f, v52, -v36
	v_mul_f32_e32 v46, 0xbf52af12, v21
	v_fmamk_f32 v54, v52, 0x3f116cb1, v41
	v_fma_f32 v41, 0x3f116cb1, v52, -v41
	v_add_f32_e32 v37, v37, v42
	v_fma_f32 v42, 0x3f62ad3f, v22, -v49
	v_add_f32_e32 v36, v36, v39
	v_fma_f32 v39, 0x3f116cb1, v22, -v46
	v_fmac_f32_e32 v46, 0x3f116cb1, v22
	v_add_f32_e32 v41, v41, v44
	v_sub_f32_e32 v44, v18, v20
	v_fmac_f32_e32 v49, 0x3f62ad3f, v22
	v_add_f32_e32 v42, v42, v45
	v_add_f32_e32 v45, v54, v48
	v_mul_f32_e32 v48, 0xbf29c268, v50
	v_mul_f32_e32 v21, 0xbf29c268, v21
	v_add_f32_e32 v46, v46, v47
	v_add_f32_e32 v47, v17, v19
	v_mul_f32_e32 v50, 0xbf6f5d39, v44
	v_sub_f32_e32 v17, v17, v19
	v_add_f32_e32 v40, v49, v40
	v_fma_f32 v49, 0xbf3f9e67, v22, -v21
	v_fma_f32 v19, 0xbf3f9e67, v52, -v48
	v_fmac_f32_e32 v21, 0xbf3f9e67, v22
	v_fmamk_f32 v22, v47, 0xbeb58ec6, v50
	v_add_f32_e32 v18, v18, v20
	v_mul_f32_e32 v20, 0xbf6f5d39, v17
	v_add_f32_e32 v39, v39, v43
	v_fmamk_f32 v43, v52, 0xbf3f9e67, v48
	v_add_f32_e32 v19, v19, v23
	v_add_f32_e32 v21, v21, v25
	;; [unrolled: 1-line block ×3, first 2 shown]
	v_mul_f32_e32 v23, 0x3f29c268, v44
	v_fma_f32 v25, 0xbeb58ec6, v18, -v20
	v_fma_f32 v26, 0xbeb58ec6, v47, -v50
	v_fmac_f32_e32 v20, 0xbeb58ec6, v18
	v_mul_f32_e32 v48, 0x3f29c268, v17
	v_fmamk_f32 v50, v47, 0xbf3f9e67, v23
	v_fma_f32 v23, 0xbf3f9e67, v47, -v23
	v_add_f32_e32 v26, v26, v29
	v_add_f32_e32 v20, v20, v24
	v_fma_f32 v24, 0xbf3f9e67, v18, -v48
	v_mul_f32_e32 v29, 0x3eedf032, v44
	v_fmac_f32_e32 v48, 0xbf3f9e67, v18
	v_add_f32_e32 v25, v25, v28
	v_add_f32_e32 v28, v50, v34
	;; [unrolled: 1-line block ×3, first 2 shown]
	v_fmamk_f32 v34, v47, 0x3f62ad3f, v29
	v_add_f32_e32 v27, v48, v33
	v_mul_f32_e32 v33, 0xbf7e222b, v44
	v_add_f32_e32 v24, v24, v30
	v_mul_f32_e32 v30, 0x3eedf032, v17
	v_add_f32_e32 v34, v34, v38
	v_fma_f32 v29, 0x3f62ad3f, v47, -v29
	v_fmamk_f32 v38, v47, 0x3df6dbef, v33
	v_fma_f32 v33, 0x3df6dbef, v47, -v33
	v_add_f32_e32 v51, v51, v55
	v_fma_f32 v48, 0x3f62ad3f, v18, -v30
	v_add_f32_e32 v29, v29, v35
	v_add_f32_e32 v0, v38, v0
	v_mul_f32_e32 v38, 0x3e750f2a, v17
	v_mul_f32_e32 v35, 0x3e750f2a, v44
	v_add_f32_e32 v33, v33, v36
	v_mul_f32_e32 v44, 0x3f52af12, v44
	v_add_f32_e32 v43, v43, v51
	v_fma_f32 v36, 0xbf788fa5, v18, -v38
	v_fmac_f32_e32 v30, 0x3f62ad3f, v18
	v_add_f32_e32 v32, v48, v32
	v_mul_f32_e32 v48, 0xbf7e222b, v17
	v_fmamk_f32 v50, v47, 0xbf788fa5, v35
	v_fma_f32 v35, 0xbf788fa5, v47, -v35
	v_add_f32_e32 v36, v36, v39
	v_fmamk_f32 v39, v47, 0x3f116cb1, v44
	v_add_f32_e32 v30, v30, v37
	v_fma_f32 v37, 0x3df6dbef, v18, -v48
	v_mul_f32_e32 v17, 0x3f52af12, v17
	v_fmac_f32_e32 v38, 0xbf788fa5, v18
	v_add_f32_e32 v35, v35, v41
	v_sub_f32_e32 v41, v14, v16
	v_add_f32_e32 v39, v39, v43
	v_add_f32_e32 v43, v13, v15
	v_sub_f32_e32 v13, v13, v15
	v_add_f32_e32 v37, v37, v42
	v_add_f32_e32 v42, v50, v45
	v_fma_f32 v45, 0x3f116cb1, v18, -v17
	v_add_f32_e32 v38, v38, v46
	v_mul_f32_e32 v46, 0xbf29c268, v41
	v_fmac_f32_e32 v17, 0x3f116cb1, v18
	v_add_f32_e32 v14, v14, v16
	v_mul_f32_e32 v16, 0xbf29c268, v13
	v_fmac_f32_e32 v48, 0x3df6dbef, v18
	v_fma_f32 v15, 0x3f116cb1, v47, -v44
	v_fmamk_f32 v18, v43, 0xbf3f9e67, v46
	v_add_f32_e32 v17, v17, v21
	v_fma_f32 v21, 0xbf3f9e67, v14, -v16
	v_fmac_f32_e32 v16, 0xbf3f9e67, v14
	v_mul_f32_e32 v44, 0x3f7e222b, v13
	v_add_f32_e32 v15, v15, v19
	v_add_f32_e32 v18, v18, v22
	v_mul_f32_e32 v19, 0x3f7e222b, v41
	v_fma_f32 v22, 0xbf3f9e67, v43, -v46
	v_add_f32_e32 v16, v16, v20
	v_fma_f32 v20, 0x3df6dbef, v14, -v44
	v_fmac_f32_e32 v44, 0x3df6dbef, v14
	v_fmamk_f32 v46, v43, 0x3df6dbef, v19
	v_add_f32_e32 v22, v22, v26
	v_mul_f32_e32 v26, 0xbf52af12, v41
	v_fma_f32 v19, 0x3df6dbef, v43, -v19
	v_add_f32_e32 v20, v20, v24
	v_mul_f32_e32 v24, 0xbf52af12, v13
	v_add_f32_e32 v21, v21, v25
	v_add_f32_e32 v25, v46, v28
	v_fmamk_f32 v28, v43, 0x3f116cb1, v26
	v_add_f32_e32 v19, v19, v23
	v_add_f32_e32 v23, v44, v27
	v_mul_f32_e32 v27, 0x3e750f2a, v41
	v_fma_f32 v44, 0x3f116cb1, v14, -v24
	v_add_f32_e32 v28, v28, v34
	v_fma_f32 v26, 0x3f116cb1, v43, -v26
	v_fmac_f32_e32 v24, 0x3f116cb1, v14
	v_fmamk_f32 v34, v43, 0xbf788fa5, v27
	v_add_f32_e32 v32, v44, v32
	v_mul_f32_e32 v44, 0x3e750f2a, v13
	v_add_f32_e32 v53, v53, v57
	v_add_f32_e32 v26, v26, v29
	;; [unrolled: 1-line block ×4, first 2 shown]
	v_mul_f32_e32 v29, 0x3eedf032, v41
	v_fma_f32 v30, 0xbf788fa5, v14, -v44
	v_mul_f32_e32 v34, 0x3eedf032, v13
	v_add_f32_e32 v49, v49, v53
	v_add_f32_e32 v40, v48, v40
	v_fma_f32 v27, 0xbf788fa5, v43, -v27
	v_fmac_f32_e32 v44, 0xbf788fa5, v14
	v_fmamk_f32 v46, v43, 0x3f62ad3f, v29
	v_add_f32_e32 v30, v30, v37
	v_fma_f32 v37, 0x3f62ad3f, v14, -v34
	v_mul_f32_e32 v41, 0xbf6f5d39, v41
	v_mul_f32_e32 v13, 0xbf6f5d39, v13
	v_fma_f32 v29, 0x3f62ad3f, v43, -v29
	v_add_f32_e32 v45, v45, v49
	v_add_f32_e32 v27, v27, v33
	;; [unrolled: 1-line block ×5, first 2 shown]
	v_fmac_f32_e32 v34, 0x3f62ad3f, v14
	v_fmamk_f32 v37, v43, 0xbeb58ec6, v41
	v_fma_f32 v42, 0xbeb58ec6, v14, -v13
	v_add_f32_e32 v29, v29, v35
	v_sub_f32_e32 v35, v10, v12
	v_add_f32_e32 v34, v34, v38
	v_add_f32_e32 v37, v37, v39
	;; [unrolled: 1-line block ×4, first 2 shown]
	v_mul_f32_e32 v42, 0xbe750f2a, v35
	v_sub_f32_e32 v9, v9, v11
	v_fma_f32 v11, 0xbeb58ec6, v43, -v41
	v_fmac_f32_e32 v13, 0xbeb58ec6, v14
	v_add_f32_e32 v10, v10, v12
	v_fmamk_f32 v12, v39, 0xbf788fa5, v42
	v_mul_f32_e32 v14, 0xbe750f2a, v9
	v_add_f32_e32 v11, v11, v15
	v_mul_f32_e32 v15, 0x3eedf032, v35
	v_add_f32_e32 v13, v13, v17
	v_add_f32_e32 v12, v12, v18
	v_fma_f32 v17, 0xbf788fa5, v10, -v14
	v_fma_f32 v18, 0xbf788fa5, v39, -v42
	v_fmac_f32_e32 v14, 0xbf788fa5, v10
	v_fmamk_f32 v41, v39, 0x3f62ad3f, v15
	v_mul_f32_e32 v42, 0x3eedf032, v9
	v_add_f32_e32 v21, v17, v21
	v_add_f32_e32 v17, v18, v22
	;; [unrolled: 1-line block ×4, first 2 shown]
	v_fma_f32 v16, 0x3f62ad3f, v10, -v42
	v_mul_f32_e32 v18, 0xbf29c268, v35
	v_fma_f32 v15, 0x3f62ad3f, v39, -v15
	v_fmac_f32_e32 v42, 0x3f62ad3f, v10
	v_mul_f32_e32 v25, 0xbf29c268, v9
	v_add_f32_e32 v41, v16, v20
	v_fmamk_f32 v16, v39, 0xbf3f9e67, v18
	v_add_f32_e32 v15, v15, v19
	v_add_f32_e32 v19, v42, v23
	v_fma_f32 v20, 0xbf3f9e67, v10, -v25
	v_mul_f32_e32 v23, 0x3f52af12, v35
	v_add_f32_e32 v16, v16, v28
	v_fmac_f32_e32 v25, 0xbf3f9e67, v10
	v_fma_f32 v18, 0xbf3f9e67, v39, -v18
	v_add_f32_e32 v28, v20, v32
	v_fmamk_f32 v20, v39, 0x3f116cb1, v23
	v_mul_f32_e32 v32, 0x3f52af12, v9
	v_add_f32_e32 v24, v25, v24
	v_mul_f32_e32 v25, 0xbf6f5d39, v35
	v_fma_f32 v23, 0x3f116cb1, v39, -v23
	v_add_f32_e32 v20, v20, v0
	v_fma_f32 v0, 0x3f116cb1, v10, -v32
	v_fmac_f32_e32 v32, 0x3f116cb1, v10
	v_mul_f32_e32 v42, 0xbf6f5d39, v9
	v_add_f32_e32 v18, v18, v26
	v_fmamk_f32 v26, v39, 0xbeb58ec6, v25
	v_add_f32_e32 v30, v0, v30
	v_add_f32_e32 v23, v23, v27
	;; [unrolled: 1-line block ×3, first 2 shown]
	v_fma_f32 v0, 0xbeb58ec6, v10, -v42
	v_fma_f32 v25, 0xbeb58ec6, v39, -v25
	v_fmac_f32_e32 v42, 0xbeb58ec6, v10
	v_mul_f32_e32 v32, 0x3f7e222b, v35
	v_mul_f32_e32 v9, 0x3f7e222b, v9
	v_add_f32_e32 v33, v0, v36
	v_add_f32_e32 v25, v25, v29
	;; [unrolled: 1-line block ×3, first 2 shown]
	v_fmamk_f32 v34, v39, 0x3df6dbef, v32
	v_fma_f32 v32, 0x3df6dbef, v39, -v32
	v_mad_u32_u24 v0, v7, 52, 0
	v_add_f32_e32 v26, v26, v40
	v_fma_f32 v35, 0x3df6dbef, v10, -v9
	v_fmac_f32_e32 v9, 0x3df6dbef, v10
	v_add_f32_e32 v10, v34, v37
	v_add_f32_e32 v11, v32, v11
	s_load_dwordx2 s[0:1], s[2:3], 0x0
	ds_write2_b32 v0, v8, v12 offset1:1
	ds_write2_b32 v0, v14, v16 offset0:2 offset1:3
	ds_write2_b32 v0, v20, v26 offset0:4 offset1:5
	;; [unrolled: 1-line block ×4, first 2 shown]
	v_and_b32_e32 v8, 0xff, v7
	v_add_f32_e32 v32, v9, v13
	v_mad_i32_i24 v10, 0xffffffd0, v7, v0
	v_mov_b32_e32 v23, 12
	ds_write2_b32 v0, v18, v15 offset0:10 offset1:11
	ds_write_b32 v0, v17 offset:48
	v_mul_lo_u16 v8, 0x4f, v8
	s_waitcnt lgkmcnt(0)
	v_add_nc_u32_e32 v12, 0xa00, v10
	v_add_nc_u32_e32 v16, 0x1400, v10
	;; [unrolled: 1-line block ×3, first 2 shown]
	v_lshrrev_b16 v8, 10, v8
	v_add_nc_u32_e32 v13, 0xf00, v10
	v_add_nc_u32_e32 v20, 0x1a00, v10
	s_barrier
	buffer_gl0_inv
	v_mul_lo_u16 v9, v8, 13
	ds_read2_b32 v[45:46], v10 offset1:169
	ds_read2_b32 v[14:15], v11 offset0:82 offset1:251
	ds_read2_b32 v[17:18], v12 offset0:36 offset1:205
	;; [unrolled: 1-line block ×5, first 2 shown]
	ds_read_b32 v63, v10 offset:8112
	s_waitcnt lgkmcnt(0)
	v_sub_nc_u16 v9, v7, v9
	s_barrier
	buffer_gl0_inv
	ds_write2_b32 v0, v31, v21 offset1:1
	ds_write2_b32 v0, v41, v28 offset0:2 offset1:3
	v_add_f32_e32 v34, v35, v38
	v_mul_u32_u24_sdwa v21, v9, v23 dst_sel:DWORD dst_unused:UNUSED_PAD src0_sel:BYTE_0 src1_sel:DWORD
	ds_write2_b32 v0, v30, v33 offset0:4 offset1:5
	ds_write2_b32 v0, v34, v32 offset0:6 offset1:7
	;; [unrolled: 1-line block ×4, first 2 shown]
	ds_write_b32 v0, v22 offset:48
	v_lshlrev_b32_e32 v19, 3, v21
	s_waitcnt lgkmcnt(0)
	s_barrier
	buffer_gl0_inv
	s_clause 0x5
	global_load_dwordx4 v[21:24], v19, s[12:13]
	global_load_dwordx4 v[25:28], v19, s[12:13] offset:16
	global_load_dwordx4 v[29:32], v19, s[12:13] offset:32
	;; [unrolled: 1-line block ×5, first 2 shown]
	ds_read2_b32 v[53:54], v10 offset1:169
	ds_read2_b32 v[55:56], v11 offset0:82 offset1:251
	ds_read2_b32 v[57:58], v12 offset0:36 offset1:205
	;; [unrolled: 1-line block ×4, first 2 shown]
	s_waitcnt vmcnt(5) lgkmcnt(4)
	v_mul_f32_e32 v64, v54, v22
	v_mul_f32_e32 v19, v46, v22
	s_waitcnt lgkmcnt(3)
	v_mul_f32_e32 v22, v55, v24
	v_mul_f32_e32 v24, v14, v24
	s_waitcnt vmcnt(4) lgkmcnt(2)
	v_mul_f32_e32 v65, v57, v28
	v_fmac_f32_e32 v64, v46, v21
	v_fma_f32 v46, v54, v21, -v19
	v_fmac_f32_e32 v22, v14, v23
	v_mul_f32_e32 v54, v56, v26
	v_mul_f32_e32 v14, v15, v26
	v_fma_f32 v55, v55, v23, -v24
	v_fmac_f32_e32 v65, v17, v27
	s_waitcnt vmcnt(3)
	v_mul_f32_e32 v19, v58, v30
	v_fmac_f32_e32 v54, v15, v25
	v_mul_f32_e32 v15, v17, v28
	v_fma_f32 v28, v56, v25, -v14
	ds_read2_b32 v[25:26], v20 offset0:26 offset1:195
	ds_read_b32 v56, v10 offset:8112
	v_mul_f32_e32 v17, v18, v30
	v_mul_f32_e32 v23, v47, v32
	s_waitcnt vmcnt(0)
	v_mul_f32_e32 v30, v63, v44
	s_waitcnt lgkmcnt(3)
	v_mul_f32_e32 v14, v59, v32
	v_fma_f32 v27, v57, v27, -v15
	v_fmac_f32_e32 v19, v18, v29
	v_fma_f32 v21, v58, v29, -v17
	v_mul_f32_e32 v15, v60, v34
	v_fma_f32 v17, v59, v31, -v23
	v_mul_f32_e32 v18, v48, v34
	s_waitcnt lgkmcnt(2)
	v_mul_f32_e32 v23, v61, v36
	v_mul_f32_e32 v24, v49, v36
	;; [unrolled: 1-line block ×3, first 2 shown]
	v_fmac_f32_e32 v15, v48, v33
	v_fma_f32 v18, v60, v33, -v18
	v_fmac_f32_e32 v23, v49, v35
	v_fma_f32 v24, v61, v35, -v24
	v_fmac_f32_e32 v14, v47, v31
	s_waitcnt lgkmcnt(1)
	v_mul_f32_e32 v32, v25, v40
	s_waitcnt lgkmcnt(0)
	v_fma_f32 v30, v56, v43, -v30
	v_mul_f32_e32 v33, v56, v44
	v_fma_f32 v34, v25, v39, -v34
	v_mul_f32_e32 v29, v62, v38
	v_fmac_f32_e32 v32, v51, v39
	v_sub_f32_e32 v35, v46, v30
	v_add_f32_e32 v39, v46, v30
	v_add_f32_e32 v46, v53, v46
	v_mul_f32_e32 v31, v50, v38
	v_fmac_f32_e32 v33, v63, v43
	v_mul_f32_e32 v25, v26, v42
	v_add_f32_e32 v43, v45, v64
	v_add_f32_e32 v46, v46, v55
	v_fmac_f32_e32 v29, v50, v37
	v_fma_f32 v31, v62, v37, -v31
	v_mul_f32_e32 v36, v52, v42
	v_add_f32_e32 v37, v64, v33
	v_mul_f32_e32 v38, 0xbeedf032, v35
	v_fmac_f32_e32 v25, v52, v41
	v_mul_f32_e32 v42, 0xbf52af12, v35
	v_mul_f32_e32 v49, 0xbf7e222b, v35
	;; [unrolled: 1-line block ×5, first 2 shown]
	v_add_f32_e32 v43, v43, v22
	v_add_f32_e32 v46, v46, v28
	v_fma_f32 v26, v26, v41, -v36
	v_sub_f32_e32 v36, v64, v33
	v_fmamk_f32 v40, v37, 0x3f62ad3f, v38
	v_mul_f32_e32 v41, 0x3f62ad3f, v39
	v_fma_f32 v38, 0x3f62ad3f, v37, -v38
	v_fmamk_f32 v47, v37, 0x3f116cb1, v42
	v_fma_f32 v42, 0x3f116cb1, v37, -v42
	v_fmamk_f32 v51, v37, 0x3df6dbef, v49
	;; [unrolled: 2-line block ×5, first 2 shown]
	v_fma_f32 v35, 0xbf788fa5, v37, -v35
	v_add_f32_e32 v43, v43, v54
	v_add_f32_e32 v46, v46, v27
	;; [unrolled: 1-line block ×3, first 2 shown]
	v_fmamk_f32 v44, v36, 0x3eedf032, v41
	v_add_f32_e32 v38, v45, v38
	v_mul_f32_e32 v48, 0x3f116cb1, v39
	v_add_f32_e32 v47, v45, v47
	v_add_f32_e32 v42, v45, v42
	v_mul_f32_e32 v56, 0x3df6dbef, v39
	v_add_f32_e32 v51, v45, v51
	v_add_f32_e32 v49, v45, v49
	;; [unrolled: 1-line block ×3, first 2 shown]
	v_mul_f32_e32 v37, 0xbeb58ec6, v39
	v_add_f32_e32 v52, v45, v52
	v_add_f32_e32 v60, v45, v60
	;; [unrolled: 1-line block ×5, first 2 shown]
	v_mul_f32_e32 v45, 0xbf3f9e67, v39
	v_mul_f32_e32 v39, 0xbf788fa5, v39
	v_add_f32_e32 v43, v43, v65
	v_add_f32_e32 v46, v46, v21
	v_fmac_f32_e32 v41, 0xbeedf032, v36
	v_fmamk_f32 v50, v36, 0x3f52af12, v48
	v_fmac_f32_e32 v48, 0xbf52af12, v36
	v_fmamk_f32 v58, v36, 0x3f7e222b, v56
	;; [unrolled: 2-line block ×4, first 2 shown]
	v_fmac_f32_e32 v45, 0xbf29c268, v36
	v_add_f32_e32 v43, v43, v19
	v_fmamk_f32 v64, v36, 0x3e750f2a, v39
	v_fmac_f32_e32 v39, 0xbe750f2a, v36
	v_add_f32_e32 v36, v53, v44
	v_add_f32_e32 v44, v46, v17
	;; [unrolled: 1-line block ×10, first 2 shown]
	v_sub_f32_e32 v64, v55, v26
	v_add_f32_e32 v44, v44, v24
	v_add_f32_e32 v43, v43, v23
	;; [unrolled: 1-line block ×13, first 2 shown]
	v_mul_f32_e32 v66, 0xbf52af12, v64
	v_add_f32_e32 v55, v55, v26
	v_add_f32_e32 v26, v44, v26
	v_add_f32_e32 v43, v43, v25
	v_sub_f32_e32 v44, v22, v25
	v_fmamk_f32 v67, v53, 0x3f116cb1, v66
	v_mul_f32_e32 v68, 0x3f116cb1, v55
	v_add_f32_e32 v22, v26, v30
	v_mul_f32_e32 v26, 0xbf6f5d39, v64
	v_add_f32_e32 v25, v43, v33
	v_add_f32_e32 v30, v67, v40
	v_fmamk_f32 v33, v44, 0x3f52af12, v68
	v_fma_f32 v40, 0x3f116cb1, v53, -v66
	v_fmac_f32_e32 v68, 0xbf52af12, v44
	v_fmamk_f32 v43, v53, 0xbeb58ec6, v26
	v_mul_f32_e32 v66, 0xbeb58ec6, v55
	v_add_f32_e32 v33, v33, v36
	v_add_f32_e32 v36, v40, v38
	;; [unrolled: 1-line block ×4, first 2 shown]
	v_fmamk_f32 v41, v44, 0x3f6f5d39, v66
	v_mul_f32_e32 v43, 0xbe750f2a, v64
	v_fma_f32 v26, 0xbeb58ec6, v53, -v26
	v_fmac_f32_e32 v66, 0xbf6f5d39, v44
	v_mul_f32_e32 v47, 0xbf788fa5, v55
	v_add_f32_e32 v41, v41, v46
	v_fmamk_f32 v46, v53, 0xbf788fa5, v43
	v_add_f32_e32 v26, v26, v42
	v_add_f32_e32 v42, v66, v48
	v_fmamk_f32 v48, v44, 0x3e750f2a, v47
	v_mul_f32_e32 v66, 0x3f29c268, v64
	v_add_f32_e32 v46, v46, v51
	v_fma_f32 v43, 0xbf788fa5, v53, -v43
	v_fmac_f32_e32 v47, 0xbe750f2a, v44
	v_mul_f32_e32 v51, 0xbf3f9e67, v55
	v_add_f32_e32 v48, v48, v50
	v_fmamk_f32 v50, v53, 0xbf3f9e67, v66
	v_add_f32_e32 v43, v43, v49
	v_add_f32_e32 v47, v47, v56
	v_mul_f32_e32 v49, 0x3f7e222b, v64
	v_fmamk_f32 v56, v44, 0xbf29c268, v51
	v_add_f32_e32 v50, v50, v57
	v_fma_f32 v57, 0xbf3f9e67, v53, -v66
	v_fmac_f32_e32 v51, 0x3f29c268, v44
	v_fmamk_f32 v66, v53, 0x3df6dbef, v49
	v_add_f32_e32 v56, v56, v58
	v_mul_f32_e32 v58, 0x3eedf032, v64
	v_fma_f32 v49, 0x3df6dbef, v53, -v49
	v_mul_f32_e32 v67, 0x3df6dbef, v55
	v_add_f32_e32 v37, v51, v37
	v_add_f32_e32 v51, v66, v60
	v_fmamk_f32 v60, v53, 0x3f62ad3f, v58
	v_add_f32_e32 v49, v49, v59
	v_sub_f32_e32 v59, v28, v34
	v_add_f32_e32 v52, v57, v52
	v_fmamk_f32 v57, v44, 0xbf7e222b, v67
	v_mul_f32_e32 v55, 0x3f62ad3f, v55
	v_add_f32_e32 v60, v60, v61
	v_add_f32_e32 v61, v54, v32
	v_mul_f32_e32 v64, 0xbf7e222b, v59
	v_add_f32_e32 v28, v28, v34
	v_fmac_f32_e32 v67, 0x3f7e222b, v44
	v_add_f32_e32 v57, v57, v62
	v_fmamk_f32 v62, v44, 0xbeedf032, v55
	v_fma_f32 v34, 0x3f62ad3f, v53, -v58
	v_fmac_f32_e32 v55, 0x3eedf032, v44
	v_fmamk_f32 v44, v61, 0x3df6dbef, v64
	v_sub_f32_e32 v32, v54, v32
	v_mul_f32_e32 v53, 0x3df6dbef, v28
	v_add_f32_e32 v34, v34, v35
	v_add_f32_e32 v35, v55, v39
	;; [unrolled: 1-line block ×3, first 2 shown]
	v_mul_f32_e32 v55, 0xbf788fa5, v28
	v_fmamk_f32 v44, v32, 0x3f7e222b, v53
	v_mul_f32_e32 v39, 0xbe750f2a, v59
	v_fmac_f32_e32 v53, 0xbf7e222b, v32
	v_fma_f32 v54, 0x3df6dbef, v61, -v64
	v_add_f32_e32 v45, v67, v45
	v_add_f32_e32 v33, v44, v33
	v_fmamk_f32 v44, v32, 0x3e750f2a, v55
	v_fmamk_f32 v58, v61, 0xbf788fa5, v39
	v_add_f32_e32 v38, v53, v38
	v_mul_f32_e32 v53, 0x3f6f5d39, v59
	v_fma_f32 v39, 0xbf788fa5, v61, -v39
	v_fmac_f32_e32 v55, 0xbe750f2a, v32
	v_add_f32_e32 v41, v44, v41
	v_mul_f32_e32 v44, 0xbeb58ec6, v28
	v_add_f32_e32 v36, v54, v36
	v_fmamk_f32 v54, v61, 0xbeb58ec6, v53
	v_add_f32_e32 v26, v39, v26
	v_add_f32_e32 v39, v55, v42
	v_mul_f32_e32 v42, 0x3eedf032, v59
	v_fmamk_f32 v55, v32, 0xbf6f5d39, v44
	v_add_f32_e32 v46, v54, v46
	v_fma_f32 v53, 0xbeb58ec6, v61, -v53
	v_fmac_f32_e32 v44, 0x3f6f5d39, v32
	v_fmamk_f32 v54, v61, 0x3f62ad3f, v42
	v_add_f32_e32 v48, v55, v48
	v_mul_f32_e32 v55, 0x3f62ad3f, v28
	v_add_f32_e32 v43, v53, v43
	v_add_f32_e32 v44, v44, v47
	v_add_f32_e32 v47, v54, v50
	v_mul_f32_e32 v50, 0xbf52af12, v59
	v_fmamk_f32 v53, v32, 0xbeedf032, v55
	v_fmac_f32_e32 v55, 0x3eedf032, v32
	v_add_f32_e32 v40, v58, v40
	v_fma_f32 v42, 0x3f62ad3f, v61, -v42
	v_mul_f32_e32 v54, 0x3f116cb1, v28
	v_fmamk_f32 v58, v61, 0x3f116cb1, v50
	v_add_f32_e32 v37, v55, v37
	v_mul_f32_e32 v55, 0xbf29c268, v59
	v_fma_f32 v50, 0x3f116cb1, v61, -v50
	v_add_f32_e32 v53, v53, v56
	v_add_f32_e32 v42, v42, v52
	v_fmamk_f32 v52, v32, 0x3f52af12, v54
	v_fmac_f32_e32 v54, 0xbf52af12, v32
	v_fmamk_f32 v56, v61, 0xbf3f9e67, v55
	v_add_f32_e32 v49, v50, v49
	v_sub_f32_e32 v50, v27, v31
	v_add_f32_e32 v51, v58, v51
	v_mul_f32_e32 v28, 0xbf3f9e67, v28
	v_add_f32_e32 v45, v54, v45
	v_add_f32_e32 v54, v56, v60
	;; [unrolled: 1-line block ×3, first 2 shown]
	v_mul_f32_e32 v58, 0xbf6f5d39, v50
	v_add_f32_e32 v52, v52, v57
	v_fmamk_f32 v57, v32, 0x3f29c268, v28
	v_add_f32_e32 v27, v27, v31
	v_fmac_f32_e32 v28, 0xbf29c268, v32
	v_fmamk_f32 v32, v56, 0xbeb58ec6, v58
	v_fma_f32 v31, 0xbf3f9e67, v61, -v55
	v_sub_f32_e32 v29, v65, v29
	v_mul_f32_e32 v55, 0xbeb58ec6, v27
	v_add_f32_e32 v28, v28, v35
	v_add_f32_e32 v30, v32, v30
	v_mul_f32_e32 v32, 0x3f29c268, v50
	v_add_f32_e32 v31, v31, v34
	v_fmamk_f32 v34, v29, 0x3f6f5d39, v55
	v_fma_f32 v35, 0xbeb58ec6, v56, -v58
	v_fmac_f32_e32 v55, 0xbf6f5d39, v29
	v_mul_f32_e32 v58, 0xbf3f9e67, v27
	v_fmamk_f32 v59, v56, 0xbf3f9e67, v32
	v_add_f32_e32 v33, v34, v33
	v_add_f32_e32 v34, v35, v36
	;; [unrolled: 1-line block ×3, first 2 shown]
	v_fmamk_f32 v36, v29, 0xbf29c268, v58
	v_add_f32_e32 v38, v59, v40
	v_mul_f32_e32 v40, 0x3eedf032, v50
	v_fma_f32 v32, 0xbf3f9e67, v56, -v32
	v_fmac_f32_e32 v58, 0x3f29c268, v29
	v_add_f32_e32 v36, v36, v41
	v_mul_f32_e32 v41, 0x3f62ad3f, v27
	v_fmamk_f32 v55, v56, 0x3f62ad3f, v40
	v_add_f32_e32 v26, v32, v26
	v_add_f32_e32 v32, v58, v39
	v_mul_f32_e32 v39, 0xbf7e222b, v50
	v_fmamk_f32 v58, v29, 0xbeedf032, v41
	v_add_f32_e32 v46, v55, v46
	v_fma_f32 v40, 0x3f62ad3f, v56, -v40
	v_fmac_f32_e32 v41, 0x3eedf032, v29
	v_fmamk_f32 v55, v56, 0x3df6dbef, v39
	v_fma_f32 v39, 0x3df6dbef, v56, -v39
	v_add_f32_e32 v48, v58, v48
	v_add_f32_e32 v40, v40, v43
	;; [unrolled: 1-line block ×4, first 2 shown]
	v_mul_f32_e32 v44, 0x3e750f2a, v50
	v_mul_f32_e32 v55, 0xbf788fa5, v27
	v_add_f32_e32 v39, v39, v42
	v_mul_f32_e32 v50, 0x3f52af12, v50
	v_mul_f32_e32 v58, 0x3df6dbef, v27
	v_fmamk_f32 v59, v56, 0xbf788fa5, v44
	v_fmamk_f32 v42, v29, 0xbe750f2a, v55
	v_fma_f32 v44, 0xbf788fa5, v56, -v44
	v_fmac_f32_e32 v55, 0x3e750f2a, v29
	v_fmamk_f32 v47, v29, 0x3f7e222b, v58
	v_mul_f32_e32 v27, 0x3f116cb1, v27
	v_add_f32_e32 v42, v42, v52
	v_fmamk_f32 v52, v56, 0x3f116cb1, v50
	v_add_f32_e32 v44, v44, v49
	v_sub_f32_e32 v49, v21, v24
	v_add_f32_e32 v45, v55, v45
	v_add_f32_e32 v21, v21, v24
	;; [unrolled: 1-line block ×4, first 2 shown]
	v_mul_f32_e32 v55, 0xbf29c268, v49
	v_fmac_f32_e32 v58, 0xbf7e222b, v29
	v_add_f32_e32 v47, v47, v53
	v_fmamk_f32 v53, v29, 0xbf52af12, v27
	v_fmac_f32_e32 v27, 0x3f52af12, v29
	v_fmamk_f32 v29, v54, 0xbf3f9e67, v55
	v_sub_f32_e32 v19, v19, v23
	v_mul_f32_e32 v23, 0xbf3f9e67, v21
	v_fma_f32 v24, 0x3f116cb1, v56, -v50
	v_add_f32_e32 v27, v27, v28
	v_add_f32_e32 v28, v29, v30
	v_mul_f32_e32 v50, 0x3df6dbef, v21
	v_fmamk_f32 v30, v19, 0x3f29c268, v23
	v_mul_f32_e32 v29, 0x3f7e222b, v49
	v_fmac_f32_e32 v23, 0xbf29c268, v19
	v_add_f32_e32 v24, v24, v31
	v_fma_f32 v31, 0xbf3f9e67, v54, -v55
	v_add_f32_e32 v30, v30, v33
	v_fmamk_f32 v33, v19, 0xbf7e222b, v50
	v_fmamk_f32 v55, v54, 0x3df6dbef, v29
	v_add_f32_e32 v23, v23, v35
	v_mul_f32_e32 v35, 0xbf52af12, v49
	v_fma_f32 v29, 0x3df6dbef, v54, -v29
	v_fmac_f32_e32 v50, 0x3f7e222b, v19
	v_add_f32_e32 v33, v33, v36
	v_mul_f32_e32 v36, 0x3f116cb1, v21
	v_add_f32_e32 v31, v31, v34
	v_add_f32_e32 v34, v55, v38
	v_fmamk_f32 v38, v54, 0x3f116cb1, v35
	v_add_f32_e32 v26, v29, v26
	v_add_f32_e32 v29, v50, v32
	v_mul_f32_e32 v32, 0x3e750f2a, v49
	v_fmamk_f32 v50, v19, 0x3f52af12, v36
	v_fmac_f32_e32 v36, 0xbf52af12, v19
	v_add_f32_e32 v62, v62, v63
	v_add_f32_e32 v38, v38, v46
	v_fma_f32 v35, 0x3f116cb1, v54, -v35
	v_fmamk_f32 v46, v54, 0xbf788fa5, v32
	v_add_f32_e32 v48, v50, v48
	v_mul_f32_e32 v50, 0xbf788fa5, v21
	v_add_f32_e32 v36, v36, v41
	v_mul_f32_e32 v41, 0x3eedf032, v49
	v_add_f32_e32 v57, v57, v62
	v_add_f32_e32 v37, v58, v37
	;; [unrolled: 1-line block ×4, first 2 shown]
	v_fmamk_f32 v43, v19, 0xbe750f2a, v50
	v_fma_f32 v32, 0xbf788fa5, v54, -v32
	v_fmac_f32_e32 v50, 0x3e750f2a, v19
	v_mul_f32_e32 v46, 0x3f62ad3f, v21
	v_fmamk_f32 v55, v54, 0x3f62ad3f, v41
	v_mul_f32_e32 v21, 0xbeb58ec6, v21
	v_fma_f32 v41, 0x3f62ad3f, v54, -v41
	v_add_f32_e32 v51, v59, v51
	v_add_f32_e32 v53, v53, v57
	;; [unrolled: 1-line block ×4, first 2 shown]
	v_fmamk_f32 v39, v19, 0xbeedf032, v46
	v_fmac_f32_e32 v46, 0x3eedf032, v19
	v_fmamk_f32 v50, v19, 0x3f6f5d39, v21
	v_add_f32_e32 v41, v41, v44
	v_sub_f32_e32 v44, v17, v18
	v_add_f32_e32 v43, v43, v47
	v_add_f32_e32 v47, v55, v51
	v_mul_f32_e32 v49, 0xbf6f5d39, v49
	v_add_f32_e32 v45, v46, v45
	v_add_f32_e32 v46, v50, v53
	;; [unrolled: 1-line block ×3, first 2 shown]
	v_mul_f32_e32 v51, 0xbe750f2a, v44
	v_add_f32_e32 v17, v17, v18
	v_add_f32_e32 v39, v39, v42
	v_fmamk_f32 v42, v54, 0xbeb58ec6, v49
	v_fma_f32 v18, 0xbeb58ec6, v54, -v49
	v_fmac_f32_e32 v21, 0xbf6f5d39, v19
	v_sub_f32_e32 v49, v14, v15
	v_fmamk_f32 v14, v50, 0xbf788fa5, v51
	v_mul_f32_e32 v15, 0xbf788fa5, v17
	v_mul_f32_e32 v19, 0x3eedf032, v44
	v_add_f32_e32 v18, v18, v24
	v_add_f32_e32 v24, v21, v27
	;; [unrolled: 1-line block ×3, first 2 shown]
	v_fmamk_f32 v21, v49, 0x3e750f2a, v15
	v_fma_f32 v27, 0xbf788fa5, v50, -v51
	v_fmac_f32_e32 v15, 0xbe750f2a, v49
	v_fmamk_f32 v28, v50, 0x3f62ad3f, v19
	v_mul_f32_e32 v51, 0x3f62ad3f, v17
	v_add_f32_e32 v30, v21, v30
	v_add_f32_e32 v21, v27, v31
	;; [unrolled: 1-line block ×4, first 2 shown]
	v_fmamk_f32 v27, v49, 0xbeedf032, v51
	v_mul_f32_e32 v28, 0xbf29c268, v44
	v_fma_f32 v19, 0x3f62ad3f, v50, -v19
	v_mul_f32_e32 v31, 0xbf3f9e67, v17
	v_fmac_f32_e32 v51, 0x3eedf032, v49
	v_add_f32_e32 v33, v27, v33
	v_fmamk_f32 v27, v50, 0xbf3f9e67, v28
	v_add_f32_e32 v19, v19, v26
	v_fmamk_f32 v26, v49, 0x3f29c268, v31
	v_fma_f32 v28, 0xbf3f9e67, v50, -v28
	v_mul_f32_e32 v34, 0x3f52af12, v44
	v_add_f32_e32 v27, v27, v38
	v_mul_f32_e32 v38, 0x3f116cb1, v17
	v_add_f32_e32 v29, v51, v29
	v_add_f32_e32 v26, v26, v48
	;; [unrolled: 1-line block ×3, first 2 shown]
	v_fmac_f32_e32 v31, 0xbf29c268, v49
	v_fmamk_f32 v35, v50, 0x3f116cb1, v34
	v_mul_f32_e32 v48, 0xbf6f5d39, v44
	v_fmamk_f32 v51, v49, 0xbf52af12, v38
	v_fma_f32 v34, 0x3f116cb1, v50, -v34
	v_add_f32_e32 v31, v31, v36
	v_add_f32_e32 v35, v35, v40
	v_fmamk_f32 v36, v50, 0xbeb58ec6, v48
	v_add_f32_e32 v40, v51, v43
	v_fma_f32 v43, 0xbeb58ec6, v50, -v48
	v_mov_b32_e32 v48, 0x2a4
	v_mov_b32_e32 v51, 2
	v_mul_f32_e32 v44, 0x3f7e222b, v44
	v_add_f32_e32 v42, v42, v52
	v_add_f32_e32 v32, v34, v32
	v_mul_u32_u24_sdwa v8, v8, v48 dst_sel:DWORD dst_unused:UNUSED_PAD src0_sel:WORD_0 src1_sel:DWORD
	v_lshlrev_b32_sdwa v9, v51, v9 dst_sel:DWORD dst_unused:UNUSED_PAD src0_sel:DWORD src1_sel:BYTE_0
	v_mul_f32_e32 v34, 0xbeb58ec6, v17
	v_add_f32_e32 v41, v43, v41
	v_fmamk_f32 v43, v50, 0x3df6dbef, v44
	v_mul_f32_e32 v52, 0x3df6dbef, v17
	v_fma_f32 v17, 0x3df6dbef, v50, -v44
	v_add3_u32 v44, 0, v8, v9
	v_add_f32_e32 v36, v36, v47
	v_add_f32_e32 v42, v43, v42
	;; [unrolled: 1-line block ×3, first 2 shown]
	s_barrier
	buffer_gl0_inv
	ds_write2_b32 v44, v25, v14 offset1:13
	ds_write2_b32 v44, v15, v27 offset0:26 offset1:39
	ds_write2_b32 v44, v35, v36 offset0:52 offset1:65
	;; [unrolled: 1-line block ×5, first 2 shown]
	ds_write_b32 v44, v21 offset:624
	s_waitcnt lgkmcnt(0)
	s_barrier
	buffer_gl0_inv
	ds_read2_b32 v[8:9], v10 offset1:169
	ds_read2_b32 v[18:19], v11 offset0:82 offset1:251
	ds_read2_b32 v[14:15], v12 offset0:36 offset1:205
	;; [unrolled: 1-line block ×5, first 2 shown]
	ds_read_b32 v27, v10 offset:8112
	v_fmamk_f32 v47, v49, 0x3f6f5d39, v34
	v_fmamk_f32 v43, v49, 0xbf7e222b, v52
	v_fmac_f32_e32 v52, 0x3f7e222b, v49
	v_fmac_f32_e32 v38, 0x3f52af12, v49
	;; [unrolled: 1-line block ×3, first 2 shown]
	v_add_f32_e32 v11, v47, v39
	v_add_f32_e32 v28, v43, v46
	;; [unrolled: 1-line block ×5, first 2 shown]
	s_waitcnt lgkmcnt(0)
	s_barrier
	buffer_gl0_inv
	ds_write2_b32 v44, v22, v30 offset1:13
	ds_write2_b32 v44, v33, v26 offset0:26 offset1:39
	ds_write2_b32 v44, v40, v11 offset0:52 offset1:65
	;; [unrolled: 1-line block ×5, first 2 shown]
	ds_write_b32 v44, v23 offset:624
	s_waitcnt lgkmcnt(0)
	s_barrier
	buffer_gl0_inv
	s_and_saveexec_b32 s2, vcc_lo
	s_cbranch_execz .LBB0_15
; %bb.14:
	v_mul_u32_u24_e32 v10, 12, v7
	v_mul_i32_i24_e32 v7, 0xffffffd0, v7
	v_mul_lo_u32 v24, s0, v6
	v_lshlrev_b64 v[1:2], 3, v[1:2]
	v_lshlrev_b64 v[3:4], 3, v[3:4]
	v_lshlrev_b32_e32 v10, 3, v10
	v_add_nc_u32_e32 v0, v0, v7
	v_mul_lo_u32 v7, s1, v5
	v_mad_u64_u32 v[5:6], null, s0, v5, 0
	s_clause 0x5
	global_load_dwordx4 v[29:32], v10, s[12:13] offset:1328
	global_load_dwordx4 v[33:36], v10, s[12:13] offset:1248
	;; [unrolled: 1-line block ×6, first 2 shown]
	v_add_nc_u32_e32 v22, 0x400, v0
	v_add_nc_u32_e32 v23, 0x1a00, v0
	ds_read2_b32 v[10:11], v0 offset1:169
	ds_read_b32 v25, v0 offset:8112
	ds_read2_b32 v[37:38], v22 offset0:82 offset1:251
	ds_read2_b32 v[58:59], v23 offset0:26 offset1:195
	v_add_nc_u32_e32 v22, 0xa00, v0
	v_add_nc_u32_e32 v23, 0x1400, v0
	;; [unrolled: 1-line block ×3, first 2 shown]
	ds_read2_b32 v[60:61], v22 offset0:36 offset1:205
	ds_read2_b32 v[62:63], v23 offset0:72 offset1:241
	v_add3_u32 v6, v6, v24, v7
	ds_read2_b32 v[64:65], v0 offset0:54 offset1:223
	v_lshlrev_b64 v[5:6], 3, v[5:6]
	v_add_co_u32 v5, vcc_lo, s10, v5
	v_add_co_ci_u32_e32 v6, vcc_lo, s11, v6, vcc_lo
	v_add_co_u32 v1, vcc_lo, v5, v1
	v_add_co_ci_u32_e32 v2, vcc_lo, v6, v2, vcc_lo
	s_waitcnt vmcnt(5)
	v_mul_f32_e32 v0, v27, v32
	s_waitcnt vmcnt(4)
	v_mul_f32_e32 v7, v9, v34
	s_waitcnt lgkmcnt(6)
	v_mul_f32_e32 v66, v11, v34
	s_waitcnt lgkmcnt(5)
	v_mul_f32_e32 v22, v25, v32
	v_mul_f32_e32 v45, v21, v30
	v_mul_f32_e32 v67, v18, v36
	s_waitcnt lgkmcnt(4)
	v_mul_f32_e32 v68, v37, v36
	s_waitcnt lgkmcnt(3)
	v_mul_f32_e32 v23, v59, v30
	s_waitcnt vmcnt(3)
	v_mul_f32_e32 v36, v20, v44
	s_waitcnt vmcnt(2)
	v_mul_f32_e32 v69, v19, v47
	v_mul_f32_e32 v40, v38, v47
	;; [unrolled: 1-line block ×5, first 2 shown]
	s_waitcnt lgkmcnt(2)
	v_mul_f32_e32 v39, v60, v49
	s_waitcnt lgkmcnt(1)
	v_mul_f32_e32 v26, v63, v42
	s_waitcnt vmcnt(1)
	v_mul_f32_e32 v42, v16, v53
	s_waitcnt vmcnt(0)
	v_mul_f32_e32 v49, v15, v55
	v_mul_f32_e32 v34, v61, v55
	;; [unrolled: 1-line block ×5, first 2 shown]
	s_waitcnt lgkmcnt(0)
	v_mul_f32_e32 v32, v64, v57
	v_mul_f32_e32 v30, v65, v51
	v_fma_f32 v51, v11, v33, -v7
	v_fmac_f32_e32 v66, v9, v33
	v_fma_f32 v57, v37, v35, -v67
	v_fma_f32 v25, v25, v31, -v0
	v_fmac_f32_e32 v22, v27, v31
	v_fma_f32 v27, v59, v29, -v45
	v_fmac_f32_e32 v68, v18, v35
	v_fmac_f32_e32 v23, v21, v29
	v_fma_f32 v45, v38, v46, -v69
	v_fmac_f32_e32 v40, v19, v46
	v_fmac_f32_e32 v24, v20, v43
	v_fma_f32 v20, v63, v41, -v44
	v_fma_f32 v44, v60, v48, -v47
	;; [unrolled: 1-line block ×4, first 2 shown]
	v_fmac_f32_e32 v34, v15, v54
	v_fmac_f32_e32 v28, v16, v52
	v_add_f32_e32 v46, v25, v51
	v_add_f32_e32 v47, v27, v57
	v_sub_f32_e32 v49, v51, v25
	v_sub_f32_e32 v52, v57, v27
	v_add_f32_e32 v54, v8, v66
	v_fmac_f32_e32 v39, v14, v48
	v_fma_f32 v33, v64, v56, -v55
	v_fmac_f32_e32 v32, v12, v56
	v_sub_f32_e32 v19, v66, v22
	v_add_f32_e32 v18, v22, v66
	v_add_f32_e32 v51, v10, v51
	v_mul_f32_e32 v55, 0xbf788fa5, v46
	v_mul_f32_e32 v56, 0x3f62ad3f, v47
	;; [unrolled: 1-line block ×19, first 2 shown]
	v_add_f32_e32 v52, v54, v68
	v_fma_f32 v21, v58, v43, -v36
	v_fmac_f32_e32 v26, v17, v41
	v_sub_f32_e32 v14, v68, v23
	v_sub_f32_e32 v12, v40, v24
	v_add_f32_e32 v17, v23, v68
	v_add_f32_e32 v16, v24, v40
	v_mul_f32_e32 v71, 0xbf29c268, v49
	v_mul_f32_e32 v83, 0xbf6f5d39, v49
	;; [unrolled: 1-line block ×3, first 2 shown]
	v_add_f32_e32 v51, v51, v57
	v_fmamk_f32 v111, v19, 0x3e750f2a, v55
	v_fmamk_f32 v112, v18, 0xbf788fa5, v59
	v_add_f32_e32 v40, v52, v40
	v_fma_f32 v31, v65, v50, -v53
	v_fmac_f32_e32 v30, v13, v50
	v_add_f32_e32 v50, v21, v45
	v_sub_f32_e32 v11, v39, v26
	v_sub_f32_e32 v53, v45, v21
	v_add_f32_e32 v15, v26, v39
	v_fmamk_f32 v113, v14, 0xbeedf032, v56
	v_fmamk_f32 v114, v17, 0x3f62ad3f, v62
	;; [unrolled: 1-line block ×4, first 2 shown]
	v_add_f32_e32 v45, v51, v45
	v_fmamk_f32 v51, v18, 0xbeb58ec6, v83
	v_add_f32_e32 v111, v10, v111
	v_add_f32_e32 v39, v40, v39
	v_fmamk_f32 v40, v18, 0x3df6dbef, v95
	v_add_f32_e32 v112, v8, v112
	v_mul_f32_e32 v106, 0xbf52af12, v49
	v_mul_f32_e32 v49, 0xbeedf032, v49
	v_fmamk_f32 v116, v14, 0xbf7e222b, v70
	v_fmamk_f32 v118, v17, 0x3df6dbef, v72
	;; [unrolled: 1-line block ×5, first 2 shown]
	v_add_f32_e32 v115, v10, v115
	v_add_f32_e32 v111, v111, v113
	v_fmamk_f32 v113, v17, 0xbf788fa5, v96
	v_add_f32_e32 v117, v8, v117
	v_add_f32_e32 v112, v112, v114
	v_fmamk_f32 v114, v19, 0x3f52af12, v104
	v_add_f32_e32 v51, v8, v51
	v_add_f32_e32 v40, v8, v40
	;; [unrolled: 1-line block ×3, first 2 shown]
	v_sub_f32_e32 v42, v44, v20
	v_fmamk_f32 v120, v14, 0xbf29c268, v82
	v_add_f32_e32 v44, v45, v44
	v_fmamk_f32 v45, v14, 0x3e750f2a, v94
	v_add_f32_e32 v115, v115, v116
	;; [unrolled: 2-line block ×3, first 2 shown]
	v_add_f32_e32 v117, v117, v118
	v_fmamk_f32 v118, v18, 0x3f116cb1, v106
	v_add_f32_e32 v121, v10, v121
	v_add_f32_e32 v51, v51, v52
	v_fmamk_f32 v52, v19, 0x3eedf032, v48
	v_add_f32_e32 v114, v10, v114
	;; [unrolled: 3-line block ×3, first 2 shown]
	v_add_f32_e32 v36, v31, v33
	v_sub_f32_e32 v43, v35, v29
	v_sub_f32_e32 v41, v33, v31
	v_add_f32_e32 v119, v119, v120
	v_fmamk_f32 v120, v17, 0xbeb58ec6, v107
	v_add_f32_e32 v45, v121, v45
	v_fmamk_f32 v121, v14, 0x3f52af12, v46
	v_add_f32_e32 v118, v8, v118
	v_add_f32_e32 v52, v10, v52
	;; [unrolled: 1-line block ×3, first 2 shown]
	v_fmamk_f32 v116, v17, 0x3f116cb1, v47
	v_add_f32_e32 v113, v8, v113
	v_fmac_f32_e32 v55, 0xbe750f2a, v19
	v_fmac_f32_e32 v69, 0xbf29c268, v19
	v_mul_f32_e32 v58, 0xbf3f9e67, v50
	v_mul_f32_e32 v61, 0xbeb58ec6, v38
	;; [unrolled: 1-line block ×23, first 2 shown]
	v_add_f32_e32 v118, v118, v120
	v_mul_f32_e32 v120, 0x3f7e222b, v43
	v_add_f32_e32 v52, v52, v121
	v_mul_f32_e32 v121, 0x3f62ad3f, v36
	;; [unrolled: 2-line block ×3, first 2 shown]
	v_mul_f32_e32 v124, 0xbf3f9e67, v38
	v_mul_f32_e32 v125, 0xbf29c268, v43
	;; [unrolled: 1-line block ×4, first 2 shown]
	v_fmac_f32_e32 v56, 0x3eedf032, v14
	v_fma_f32 v36, 0xbf788fa5, v18, -v59
	v_fmac_f32_e32 v70, 0x3f7e222b, v14
	v_add_f32_e32 v38, v10, v55
	v_fma_f32 v41, 0xbf3f9e67, v18, -v71
	v_add_f32_e32 v43, v10, v69
	v_mul_f32_e32 v60, 0x3f116cb1, v37
	v_mul_f32_e32 v63, 0xbf29c268, v53
	v_mul_f32_e32 v64, 0x3f52af12, v42
	v_mul_f32_e32 v74, 0xbf52af12, v53
	v_mul_f32_e32 v75, 0xbf788fa5, v37
	v_mul_f32_e32 v76, 0x3e750f2a, v42
	v_mul_f32_e32 v86, 0x3eedf032, v53
	v_mul_f32_e32 v87, 0x3df6dbef, v37
	v_mul_f32_e32 v88, 0xbf7e222b, v42
	v_mul_f32_e32 v99, 0x3f62ad3f, v37
	v_mul_f32_e32 v100, 0x3eedf032, v42
	v_mul_f32_e32 v108, 0xbf3f9e67, v37
	v_mul_f32_e32 v109, 0x3f29c268, v42
	v_mul_f32_e32 v122, 0xbeb58ec6, v37
	v_mul_f32_e32 v123, 0xbf6f5d39, v42
	v_fma_f32 v37, 0x3f62ad3f, v17, -v62
	v_fma_f32 v42, 0x3df6dbef, v17, -v72
	v_add_f32_e32 v36, v8, v36
	v_add_f32_e32 v38, v38, v56
	v_fmamk_f32 v55, v12, 0x3f29c268, v58
	v_add_f32_e32 v41, v8, v41
	v_add_f32_e32 v43, v43, v70
	v_fmamk_f32 v56, v12, 0x3f52af12, v73
	v_add_f32_e32 v35, v44, v35
	v_fmamk_f32 v44, v12, 0xbeedf032, v85
	v_fmamk_f32 v59, v12, 0xbf6f5d39, v97
	;; [unrolled: 1-line block ×3, first 2 shown]
	v_fmac_f32_e32 v58, 0xbf29c268, v12
	v_fmac_f32_e32 v73, 0xbf52af12, v12
	v_sub_f32_e32 v9, v34, v28
	v_add_f32_e32 v13, v28, v34
	v_add_f32_e32 v36, v36, v37
	v_fmamk_f32 v37, v16, 0xbf3f9e67, v63
	v_add_f32_e32 v41, v41, v42
	v_add_f32_e32 v34, v39, v34
	v_fmamk_f32 v39, v16, 0x3f62ad3f, v86
	v_add_f32_e32 v55, v111, v55
	v_fmamk_f32 v69, v12, 0x3e750f2a, v57
	v_add_f32_e32 v44, v119, v44
	v_fma_f32 v63, 0xbf3f9e67, v16, -v63
	v_fma_f32 v72, 0x3f116cb1, v16, -v74
	v_add_f32_e32 v45, v45, v59
	v_fmamk_f32 v59, v11, 0xbf52af12, v60
	v_add_f32_e32 v52, v52, v71
	v_fmamk_f32 v71, v11, 0xbe750f2a, v75
	;; [unrolled: 2-line block ×3, first 2 shown]
	v_add_f32_e32 v43, v43, v73
	v_add_f32_e32 v33, v35, v33
	v_fmac_f32_e32 v75, 0x3e750f2a, v11
	v_sub_f32_e32 v7, v32, v30
	v_add_f32_e32 v0, v30, v32
	v_fmamk_f32 v42, v16, 0x3f116cb1, v74
	v_add_f32_e32 v37, v112, v37
	v_add_f32_e32 v39, v51, v39
	;; [unrolled: 1-line block ×3, first 2 shown]
	v_fmamk_f32 v74, v9, 0x3f6f5d39, v61
	v_fmamk_f32 v112, v15, 0xbf788fa5, v76
	v_add_f32_e32 v36, v36, v63
	v_fmamk_f32 v63, v15, 0x3df6dbef, v88
	v_fmamk_f32 v73, v11, 0xbeedf032, v99
	v_add_f32_e32 v41, v41, v72
	v_fmamk_f32 v35, v11, 0xbf29c268, v108
	v_add_f32_e32 v32, v34, v32
	v_add_f32_e32 v55, v55, v59
	v_fmamk_f32 v59, v11, 0x3f6f5d39, v122
	v_fmac_f32_e32 v60, 0x3f52af12, v11
	v_add_f32_e32 v44, v44, v58
	v_fmamk_f32 v58, v9, 0xbeedf032, v77
	v_fma_f32 v76, 0xbf788fa5, v15, -v76
	v_add_f32_e32 v43, v43, v75
	v_add_f32_e32 v31, v31, v33
	v_fmac_f32_e32 v77, 0x3eedf032, v9
	v_add_f32_e32 v39, v39, v63
	v_fmamk_f32 v63, v13, 0x3f62ad3f, v78
	v_add_f32_e32 v45, v45, v73
	v_add_f32_e32 v35, v69, v35
	v_fmamk_f32 v69, v9, 0xbe750f2a, v89
	v_add_f32_e32 v52, v52, v59
	;; [unrolled: 3-line block ×3, first 2 shown]
	v_add_f32_e32 v30, v30, v32
	v_add_f32_e32 v55, v55, v74
	v_fmamk_f32 v74, v9, 0x3f29c268, v124
	v_fma_f32 v78, 0x3f62ad3f, v13, -v78
	v_fmac_f32_e32 v81, 0xbf6f5d39, v19
	v_add_f32_e32 v43, v43, v77
	v_add_f32_e32 v77, v29, v31
	v_fmamk_f32 v59, v7, 0xbf52af12, v91
	v_fmamk_f32 v75, v7, 0x3f29c268, v103
	;; [unrolled: 1-line block ×3, first 2 shown]
	v_add_f32_e32 v44, v44, v69
	v_fmac_f32_e32 v82, 0x3f29c268, v14
	v_fma_f32 v83, 0xbeb58ec6, v18, -v83
	v_add_f32_e32 v81, v10, v81
	v_add_f32_e32 v45, v45, v60
	;; [unrolled: 1-line block ×12, first 2 shown]
	v_fma_f32 v44, 0xbf3f9e67, v17, -v84
	v_add_f32_e32 v45, v81, v82
	v_fmac_f32_e32 v85, 0x3eedf032, v12
	v_add_f32_e32 v24, v24, v26
	v_add_f32_e32 v20, v27, v20
	;; [unrolled: 1-line block ×3, first 2 shown]
	v_fma_f32 v27, 0x3f62ad3f, v16, -v86
	v_add_f32_e32 v44, v45, v85
	v_fmac_f32_e32 v87, 0xbf7e222b, v11
	v_add_f32_e32 v23, v23, v24
	v_add_f32_e32 v21, v25, v20
	;; [unrolled: 1-line block ×3, first 2 shown]
	v_fma_f32 v25, 0x3df6dbef, v15, -v88
	v_add_f32_e32 v26, v44, v87
	v_fmac_f32_e32 v89, 0x3e750f2a, v9
	v_fmac_f32_e32 v93, 0xbf7e222b, v19
	v_add_f32_e32 v20, v22, v23
	v_add_f32_e32 v22, v24, v25
	v_fma_f32 v23, 0xbf788fa5, v13, -v90
	v_add_f32_e32 v24, v26, v89
	v_fmac_f32_e32 v91, 0x3f52af12, v7
	v_add_f32_e32 v25, v10, v93
	v_fmac_f32_e32 v94, 0xbe750f2a, v14
	v_add_f32_e32 v22, v22, v23
	v_fma_f32 v26, 0x3df6dbef, v18, -v95
	v_add_f32_e32 v23, v24, v91
	v_fmac_f32_e32 v97, 0x3f6f5d39, v12
	v_add_f32_e32 v24, v25, v94
	v_mul_f32_e32 v98, 0x3f6f5d39, v53
	v_add_f32_e32 v25, v8, v26
	v_fma_f32 v26, 0xbf788fa5, v17, -v96
	v_fmac_f32_e32 v99, 0x3eedf032, v11
	v_add_f32_e32 v24, v24, v97
	v_mul_f32_e32 v68, 0xbe750f2a, v53
	v_mul_f32_e32 v53, 0xbf7e222b, v53
	v_fmamk_f32 v62, v16, 0xbeb58ec6, v98
	v_add_f32_e32 v25, v25, v26
	v_fma_f32 v26, 0xbeb58ec6, v16, -v98
	v_add_f32_e32 v24, v24, v99
	v_fmac_f32_e32 v101, 0xbf52af12, v9
	v_fmamk_f32 v70, v16, 0xbf788fa5, v68
	v_fmamk_f32 v51, v16, 0x3df6dbef, v53
	v_add_f32_e32 v40, v40, v62
	v_fmamk_f32 v62, v15, 0x3f116cb1, v64
	v_fma_f32 v27, 0x3f116cb1, v0, -v92
	v_fmac_f32_e32 v104, 0xbf52af12, v19
	v_add_f32_e32 v25, v25, v26
	v_fma_f32 v26, 0x3f62ad3f, v15, -v100
	v_add_f32_e32 v24, v24, v101
	v_fmac_f32_e32 v103, 0xbf29c268, v7
	v_add_f32_e32 v70, v118, v70
	v_fmamk_f32 v111, v13, 0xbeb58ec6, v66
	v_add_f32_e32 v51, v113, v51
	v_fmamk_f32 v34, v15, 0xbf3f9e67, v109
	;; [unrolled: 2-line block ×3, first 2 shown]
	v_add_f32_e32 v22, v22, v27
	v_add_f32_e32 v27, v10, v104
	v_fmac_f32_e32 v105, 0xbf6f5d39, v14
	v_add_f32_e32 v26, v25, v26
	v_add_f32_e32 v25, v24, v103
	v_fma_f32 v24, 0x3f116cb1, v18, -v106
	v_fma_f32 v18, 0x3f62ad3f, v18, -v49
	v_add_f32_e32 v34, v70, v34
	v_fmamk_f32 v70, v13, 0xbf788fa5, v90
	v_add_f32_e32 v51, v51, v62
	v_add_f32_e32 v37, v37, v111
	v_fmamk_f32 v111, v13, 0xbf3f9e67, v125
	v_add_f32_e32 v27, v27, v105
	v_fmac_f32_e32 v57, 0xbe750f2a, v12
	v_add_f32_e32 v45, v8, v24
	v_fmac_f32_e32 v46, 0xbf52af12, v14
	v_add_f32_e32 v8, v8, v18
	v_fma_f32 v14, 0x3f116cb1, v17, -v47
	v_fmac_f32_e32 v48, 0xbeedf032, v19
	v_fmac_f32_e32 v61, 0xbf6f5d39, v9
	v_add_f32_e32 v39, v39, v70
	v_fmamk_f32 v70, v0, 0xbf788fa5, v127
	v_add_f32_e32 v51, v51, v111
	v_fma_f32 v44, 0x3f116cb1, v13, -v102
	v_add_f32_e32 v27, v27, v57
	v_fmac_f32_e32 v108, 0x3f29c268, v11
	v_fmac_f32_e32 v50, 0xbf7e222b, v12
	v_add_f32_e32 v8, v8, v14
	v_fma_f32 v12, 0x3df6dbef, v16, -v53
	v_add_f32_e32 v10, v10, v48
	v_add_f32_e32 v61, v38, v61
	v_add_f32_e32 v38, v51, v70
	v_add_f32_e32 v26, v26, v44
	v_fma_f32 v44, 0xbf3f9e67, v0, -v54
	v_add_f32_e32 v27, v27, v108
	v_fmac_f32_e32 v110, 0x3f7e222b, v9
	v_fma_f32 v51, 0xbeb58ec6, v17, -v107
	v_add_f32_e32 v56, v115, v56
	v_add_f32_e32 v42, v117, v42
	v_fmac_f32_e32 v122, 0xbf6f5d39, v11
	v_add_f32_e32 v8, v8, v12
	v_fma_f32 v11, 0xbeb58ec6, v15, -v123
	v_add_f32_e32 v10, v10, v46
	v_add_f32_e32 v24, v26, v44
	v_add_f32_e32 v19, v27, v110
	v_add_f32_e32 v26, v45, v51
	v_fma_f32 v27, 0xbf788fa5, v16, -v68
	v_fmamk_f32 v72, v15, 0x3f62ad3f, v100
	v_add_f32_e32 v56, v56, v71
	v_add_f32_e32 v42, v42, v112
	v_fma_f32 v64, 0x3f116cb1, v15, -v64
	v_fmac_f32_e32 v124, 0xbf29c268, v9
	v_add_f32_e32 v8, v8, v11
	v_fma_f32 v9, 0xbf3f9e67, v13, -v125
	v_add_f32_e32 v10, v10, v50
	v_add_f32_e32 v17, v26, v27
	v_fma_f32 v18, 0xbf3f9e67, v15, -v109
	v_fmamk_f32 v71, v7, 0xbf7e222b, v65
	v_fmamk_f32 v112, v0, 0x3df6dbef, v67
	;; [unrolled: 1-line block ×3, first 2 shown]
	v_add_f32_e32 v40, v40, v72
	v_fmamk_f32 v72, v0, 0xbeb58ec6, v80
	v_fmamk_f32 v62, v0, 0x3f116cb1, v92
	v_add_f32_e32 v36, v36, v64
	v_fmamk_f32 v64, v13, 0x3f116cb1, v102
	v_fmamk_f32 v76, v0, 0xbf3f9e67, v54
	;; [unrolled: 1-line block ×3, first 2 shown]
	v_add_f32_e32 v56, v56, v58
	v_fmamk_f32 v58, v7, 0xbeedf032, v121
	v_add_f32_e32 v42, v42, v63
	v_fmamk_f32 v63, v0, 0x3f62ad3f, v116
	v_fmamk_f32 v69, v7, 0x3e750f2a, v126
	v_fmac_f32_e32 v65, 0x3f7e222b, v7
	v_fma_f32 v67, 0x3df6dbef, v0, -v67
	v_fmac_f32_e32 v79, 0xbf6f5d39, v7
	v_fma_f32 v80, 0xbeb58ec6, v0, -v80
	;; [unrolled: 2-line block ×3, first 2 shown]
	v_fmac_f32_e32 v126, 0xbe750f2a, v7
	v_add_f32_e32 v7, v8, v9
	v_fma_f32 v6, 0xbf788fa5, v0, -v127
	v_add_co_u32 v0, vcc_lo, v1, v3
	v_add_f32_e32 v10, v10, v122
	v_add_co_ci_u32_e32 v1, vcc_lo, v2, v4, vcc_lo
	v_add_f32_e32 v14, v17, v18
	v_fma_f32 v16, 0x3df6dbef, v13, -v120
	v_fma_f32 v66, 0xbeb58ec6, v13, -v66
	v_add_f32_e32 v40, v40, v64
	v_add_f32_e32 v64, v34, v32
	;; [unrolled: 1-line block ×3, first 2 shown]
	v_add_co_u32 v6, vcc_lo, 0x800, v0
	v_add_f32_e32 v10, v10, v124
	v_add_co_ci_u32_e32 v7, vcc_lo, 0, v1, vcc_lo
	v_add_f32_e32 v12, v14, v16
	v_add_co_u32 v8, vcc_lo, 0x1000, v0
	v_add_f32_e32 v32, v39, v62
	v_add_f32_e32 v39, v52, v69
	;; [unrolled: 1-line block ×6, first 2 shown]
	v_add_co_ci_u32_e32 v9, vcc_lo, 0, v1, vcc_lo
	v_add_f32_e32 v34, v40, v76
	v_add_f32_e32 v5, v10, v126
	v_add_co_u32 v10, vcc_lo, 0x1800, v0
	v_add_f32_e32 v31, v56, v73
	v_add_f32_e32 v30, v42, v72
	;; [unrolled: 1-line block ×3, first 2 shown]
	v_add_co_ci_u32_e32 v11, vcc_lo, 0, v1, vcc_lo
	v_add_f32_e32 v29, v55, v71
	global_store_dwordx2 v[0:1], v[20:21], off
	global_store_dwordx2 v[0:1], v[38:39], off offset:1352
	global_store_dwordx2 v[6:7], v[36:37], off offset:656
	;; [unrolled: 1-line block ×6, first 2 shown]
	v_add_co_u32 v6, vcc_lo, 0x2000, v0
	v_add_co_ci_u32_e32 v7, vcc_lo, 0, v1, vcc_lo
	v_add_co_u32 v8, vcc_lo, 0x2800, v0
	v_add_co_ci_u32_e32 v9, vcc_lo, 0, v1, vcc_lo
	v_add_co_u32 v10, vcc_lo, 0x3000, v0
	v_add_f32_e32 v41, v61, v65
	v_add_f32_e32 v40, v66, v67
	;; [unrolled: 1-line block ×4, first 2 shown]
	v_add_co_ci_u32_e32 v11, vcc_lo, 0, v1, vcc_lo
	v_add_co_u32 v0, vcc_lo, 0x3800, v0
	v_add_f32_e32 v3, v19, v121
	v_add_co_ci_u32_e32 v1, vcc_lo, 0, v1, vcc_lo
	global_store_dwordx2 v[6:7], v[40:41], off offset:1272
	global_store_dwordx2 v[8:9], v[42:43], off offset:576
	;; [unrolled: 1-line block ×6, first 2 shown]
.LBB0_15:
	s_endpgm
	.section	.rodata,"a",@progbits
	.p2align	6, 0x0
	.amdhsa_kernel fft_rtc_back_len2197_factors_13_13_13_wgs_169_tpt_169_halfLds_sp_op_CI_CI_unitstride_sbrr_dirReg
		.amdhsa_group_segment_fixed_size 0
		.amdhsa_private_segment_fixed_size 0
		.amdhsa_kernarg_size 104
		.amdhsa_user_sgpr_count 6
		.amdhsa_user_sgpr_private_segment_buffer 1
		.amdhsa_user_sgpr_dispatch_ptr 0
		.amdhsa_user_sgpr_queue_ptr 0
		.amdhsa_user_sgpr_kernarg_segment_ptr 1
		.amdhsa_user_sgpr_dispatch_id 0
		.amdhsa_user_sgpr_flat_scratch_init 0
		.amdhsa_user_sgpr_private_segment_size 0
		.amdhsa_wavefront_size32 1
		.amdhsa_uses_dynamic_stack 0
		.amdhsa_system_sgpr_private_segment_wavefront_offset 0
		.amdhsa_system_sgpr_workgroup_id_x 1
		.amdhsa_system_sgpr_workgroup_id_y 0
		.amdhsa_system_sgpr_workgroup_id_z 0
		.amdhsa_system_sgpr_workgroup_info 0
		.amdhsa_system_vgpr_workitem_id 0
		.amdhsa_next_free_vgpr 128
		.amdhsa_next_free_sgpr 27
		.amdhsa_reserve_vcc 1
		.amdhsa_reserve_flat_scratch 0
		.amdhsa_float_round_mode_32 0
		.amdhsa_float_round_mode_16_64 0
		.amdhsa_float_denorm_mode_32 3
		.amdhsa_float_denorm_mode_16_64 3
		.amdhsa_dx10_clamp 1
		.amdhsa_ieee_mode 1
		.amdhsa_fp16_overflow 0
		.amdhsa_workgroup_processor_mode 1
		.amdhsa_memory_ordered 1
		.amdhsa_forward_progress 0
		.amdhsa_shared_vgpr_count 0
		.amdhsa_exception_fp_ieee_invalid_op 0
		.amdhsa_exception_fp_denorm_src 0
		.amdhsa_exception_fp_ieee_div_zero 0
		.amdhsa_exception_fp_ieee_overflow 0
		.amdhsa_exception_fp_ieee_underflow 0
		.amdhsa_exception_fp_ieee_inexact 0
		.amdhsa_exception_int_div_zero 0
	.end_amdhsa_kernel
	.text
.Lfunc_end0:
	.size	fft_rtc_back_len2197_factors_13_13_13_wgs_169_tpt_169_halfLds_sp_op_CI_CI_unitstride_sbrr_dirReg, .Lfunc_end0-fft_rtc_back_len2197_factors_13_13_13_wgs_169_tpt_169_halfLds_sp_op_CI_CI_unitstride_sbrr_dirReg
                                        ; -- End function
	.section	.AMDGPU.csdata,"",@progbits
; Kernel info:
; codeLenInByte = 11452
; NumSgprs: 29
; NumVgprs: 128
; ScratchSize: 0
; MemoryBound: 0
; FloatMode: 240
; IeeeMode: 1
; LDSByteSize: 0 bytes/workgroup (compile time only)
; SGPRBlocks: 3
; VGPRBlocks: 15
; NumSGPRsForWavesPerEU: 29
; NumVGPRsForWavesPerEU: 128
; Occupancy: 8
; WaveLimiterHint : 1
; COMPUTE_PGM_RSRC2:SCRATCH_EN: 0
; COMPUTE_PGM_RSRC2:USER_SGPR: 6
; COMPUTE_PGM_RSRC2:TRAP_HANDLER: 0
; COMPUTE_PGM_RSRC2:TGID_X_EN: 1
; COMPUTE_PGM_RSRC2:TGID_Y_EN: 0
; COMPUTE_PGM_RSRC2:TGID_Z_EN: 0
; COMPUTE_PGM_RSRC2:TIDIG_COMP_CNT: 0
	.text
	.p2alignl 6, 3214868480
	.fill 48, 4, 3214868480
	.type	__hip_cuid_215a79629933d651,@object ; @__hip_cuid_215a79629933d651
	.section	.bss,"aw",@nobits
	.globl	__hip_cuid_215a79629933d651
__hip_cuid_215a79629933d651:
	.byte	0                               ; 0x0
	.size	__hip_cuid_215a79629933d651, 1

	.ident	"AMD clang version 19.0.0git (https://github.com/RadeonOpenCompute/llvm-project roc-6.4.0 25133 c7fe45cf4b819c5991fe208aaa96edf142730f1d)"
	.section	".note.GNU-stack","",@progbits
	.addrsig
	.addrsig_sym __hip_cuid_215a79629933d651
	.amdgpu_metadata
---
amdhsa.kernels:
  - .args:
      - .actual_access:  read_only
        .address_space:  global
        .offset:         0
        .size:           8
        .value_kind:     global_buffer
      - .offset:         8
        .size:           8
        .value_kind:     by_value
      - .actual_access:  read_only
        .address_space:  global
        .offset:         16
        .size:           8
        .value_kind:     global_buffer
      - .actual_access:  read_only
        .address_space:  global
        .offset:         24
        .size:           8
        .value_kind:     global_buffer
      - .actual_access:  read_only
        .address_space:  global
        .offset:         32
        .size:           8
        .value_kind:     global_buffer
      - .offset:         40
        .size:           8
        .value_kind:     by_value
      - .actual_access:  read_only
        .address_space:  global
        .offset:         48
        .size:           8
        .value_kind:     global_buffer
      - .actual_access:  read_only
        .address_space:  global
        .offset:         56
        .size:           8
        .value_kind:     global_buffer
      - .offset:         64
        .size:           4
        .value_kind:     by_value
      - .actual_access:  read_only
        .address_space:  global
        .offset:         72
        .size:           8
        .value_kind:     global_buffer
      - .actual_access:  read_only
        .address_space:  global
        .offset:         80
        .size:           8
        .value_kind:     global_buffer
      - .actual_access:  read_only
        .address_space:  global
        .offset:         88
        .size:           8
        .value_kind:     global_buffer
      - .actual_access:  write_only
        .address_space:  global
        .offset:         96
        .size:           8
        .value_kind:     global_buffer
    .group_segment_fixed_size: 0
    .kernarg_segment_align: 8
    .kernarg_segment_size: 104
    .language:       OpenCL C
    .language_version:
      - 2
      - 0
    .max_flat_workgroup_size: 169
    .name:           fft_rtc_back_len2197_factors_13_13_13_wgs_169_tpt_169_halfLds_sp_op_CI_CI_unitstride_sbrr_dirReg
    .private_segment_fixed_size: 0
    .sgpr_count:     29
    .sgpr_spill_count: 0
    .symbol:         fft_rtc_back_len2197_factors_13_13_13_wgs_169_tpt_169_halfLds_sp_op_CI_CI_unitstride_sbrr_dirReg.kd
    .uniform_work_group_size: 1
    .uses_dynamic_stack: false
    .vgpr_count:     128
    .vgpr_spill_count: 0
    .wavefront_size: 32
    .workgroup_processor_mode: 1
amdhsa.target:   amdgcn-amd-amdhsa--gfx1030
amdhsa.version:
  - 1
  - 2
...

	.end_amdgpu_metadata
